;; amdgpu-corpus repo=ROCm/aiter kind=harvested arch=n/a opt=n/a

/root/src/amdgpu-assembly/repos/ROCm__aiter/hsa/gfx942/pa/pa_fp16_pertokenFp8_gqa8_1tg_4w_mtp_msk0.co:	file format elf64-amdgpu

Disassembly of section .text:

0000000000002200 <_ZN5aiter40pa_fp16_pertokenFp8_gqa8_1tg_4w_mtp_msk0E>:
	s_and_b32 s1, s1, 0xffff                                   // 000000002200: 8601FF01 0000FFFF
	s_load_dwordx2 s[8:9], s[0:1], 0x0                         // 000000002208: C0060200 00000000
	s_load_dwordx2 s[12:13], s[0:1], 0x10                      // 000000002210: C0060300 00000010
	s_load_dwordx2 s[16:17], s[0:1], 0x20                      // 000000002218: C0060400 00000020
	s_load_dwordx2 s[20:21], s[0:1], 0x30                      // 000000002220: C0060500 00000030
	s_load_dwordx2 s[24:25], s[0:1], 0x40                      // 000000002228: C0060600 00000040
	s_load_dwordx2 s[28:29], s[0:1], 0x50                      // 000000002230: C0060700 00000050
	s_load_dwordx2 s[32:33], s[0:1], 0x60                      // 000000002238: C0060800 00000060
	s_load_dwordx2 s[36:37], s[0:1], 0x70                      // 000000002240: C0060900 00000070
	s_load_dword s64, s[0:1], 0x80                             // 000000002248: C0021000 00000080
	s_load_dword s65, s[0:1], 0x90                             // 000000002250: C0021040 00000090
	s_load_dword s66, s[0:1], 0xa0                             // 000000002258: C0021080 000000A0
	s_load_dword s74, s[0:1], 0xb0                             // 000000002260: C0021280 000000B0
	s_load_dword s68, s[0:1], 0xc0                             // 000000002268: C0021100 000000C0
	s_load_dword s69, s[0:1], 0xd0                             // 000000002270: C0021140 000000D0
	s_load_dword s77, s[0:1], 0xe0                             // 000000002278: C0021340 000000E0
	s_load_dwordx2 s[80:81], s[0:1], 0xf0                      // 000000002280: C0061400 000000F0
	v_lshrrev_b32_e32 v1, 10, v0                               // 000000002288: 2002008A
	v_lshrrev_b32_e32 v2, 10, v1                               // 00000000228C: 2004028A
	v_and_b32_e32 v2, 0x3ff, v2                                // 000000002290: 260404FF 000003FF
	v_and_b32_e32 v1, 0x3ff, v1                                // 000000002298: 260202FF 000003FF
	v_and_b32_e32 v0, 0x3ff, v0                                // 0000000022A0: 260000FF 000003FF
	v_lshrrev_b32_e32 v3, 6, v0                                // 0000000022A8: 20060086
	v_and_b32_e32 v0, 63, v0                                   // 0000000022AC: 260000BF
	s_mov_b32 s2, s2                                           // 0000000022B0: BE820002
	s_mov_b32 s3, s3                                           // 0000000022B4: BE830003
	s_mov_b32 s4, s4                                           // 0000000022B8: BE840004
	v_readfirstlane_b32 s7, v3                                 // 0000000022BC: 7E0E0503
	s_waitcnt lgkmcnt(0)                                       // 0000000022C0: BF8CC07F
	s_mul_i32 s67, 0x100, s77                                  // 0000000022C4: 92434DFF 00000100
	s_mul_i32 s76, 0x100, s77                                  // 0000000022CC: 924C4DFF 00000100
	s_mul_i32 s75, s66, s76                                    // 0000000022D4: 924B4C42
	s_mul_i32 s60, s3, 4                                       // 0000000022D8: 923C8403
	s_and_b32 s29, s29, 0xffff                                 // 0000000022DC: 861DFF1D 0000FFFF
	s_add_u32 s28, s60, s28                                    // 0000000022E4: 801C1C3C
	s_addc_u32 s29, 0, s29                                     // 0000000022E8: 821D1D80
	s_load_dword s72, s[28:29], 0x0                            // 0000000022EC: C002120E 00000000
	s_mul_i32 s60, s3, 4                                       // 0000000022F4: 923C8403
	s_and_b32 s81, s81, 0xffff                                 // 0000000022F8: 8651FF51 0000FFFF
	s_add_u32 s80, s60, s80                                    // 000000002300: 8050503C
	s_addc_u32 s81, 0, s81                                     // 000000002304: 82515180
	s_load_dword s84, s[80:81], 0x0                            // 000000002308: C0021528 00000000
	s_load_dword s85, s[80:81], 0x4                            // 000000002310: C0021568 00000004
	s_mov_b32 s10, s76                                         // 000000002318: BE8A004C
	s_mov_b32 s14, s67                                         // 00000000231C: BE8E0043
	s_mul_i32 s60, 4, s65                                      // 000000002320: 923C4184
	s_mov_b32 s26, s60                                         // 000000002324: BE9A003C
	s_mov_b32 s34, 0x80000000                                  // 000000002328: BEA200FF 80000000
	s_mov_b32 s38, 0x80000000                                  // 000000002330: BEA600FF 80000000
	s_mov_b32 s18, 0x80000000                                  // 000000002338: BE9200FF 80000000
	s_mov_b32 s22, 0x80000000                                  // 000000002340: BE9600FF 80000000
	s_mov_b32 s11, 0x20000                                     // 000000002348: BE8B00FF 00020000
	s_mov_b32 s15, 0x20000                                     // 000000002350: BE8F00FF 00020000
	s_mov_b32 s19, 0x20000                                     // 000000002358: BE9300FF 00020000
	s_mov_b32 s23, 0x20000                                     // 000000002360: BE9700FF 00020000
	s_mov_b32 s27, 0x20000                                     // 000000002368: BE9B00FF 00020000
	s_mov_b32 s35, 0x20000                                     // 000000002370: BEA300FF 00020000
	s_mov_b32 s39, 0x20000                                     // 000000002378: BEA700FF 00020000
	s_and_b32 s9, s9, 0xffff                                   // 000000002380: 8609FF09 0000FFFF
	s_and_b32 s13, s13, 0xffff                                 // 000000002388: 860DFF0D 0000FFFF
	s_and_b32 s17, s17, 0xffff                                 // 000000002390: 8611FF11 0000FFFF
	s_and_b32 s21, s21, 0xffff                                 // 000000002398: 8615FF15 0000FFFF
	s_and_b32 s25, s25, 0xffff                                 // 0000000023A0: 8619FF19 0000FFFF
	s_and_b32 s33, s33, 0xffff                                 // 0000000023A8: 8621FF21 0000FFFF
	s_and_b32 s37, s37, 0xffff                                 // 0000000023B0: 8625FF25 0000FFFF
	s_or_b32 s9, s9, 0x40000                                   // 0000000023B8: 8709FF09 00040000
	s_or_b32 s13, s13, 0x40000                                 // 0000000023C0: 870DFF0D 00040000
	s_or_b32 s17, s17, 0x40000                                 // 0000000023C8: 8711FF11 00040000
	s_or_b32 s21, s21, 0x40000                                 // 0000000023D0: 8715FF15 00040000
	s_or_b32 s25, s25, 0x40000                                 // 0000000023D8: 8719FF19 00040000
	s_or_b32 s33, s33, 0x40000                                 // 0000000023E0: 8721FF21 00040000
	s_or_b32 s37, s37, 0x40000                                 // 0000000023E8: 8725FF25 00040000
	v_accvgpr_write_b32 a127, 0                                // 0000000023F0: D3D9407F 18000080
	v_mov_b32_e32 v255, 0                                      // 0000000023F8: 7FFE0280
	s_mov_b32 s88, 0                                           // 0000000023FC: BED80080
	s_waitcnt lgkmcnt(0)                                       // 000000002400: BF8CC07F
	s_sub_u32 s86, s85, s84                                    // 000000002404: 80D65455
	s_mov_b32 s60, 2                                           // 000000002408: BEBC0082
	s_cmp_eq_i32 s60, s86                                      // 00000000240C: BF00563C
	s_cbranch_scc1 label_0DC5                                  // 000000002410: BF850D40
	s_mov_b32 s60, 3                                           // 000000002414: BEBC0083
	s_cmp_eq_i32 s60, s86                                      // 000000002418: BF00563C
	s_cbranch_scc1 label_1E1E                                  // 00000000241C: BF851D96
	s_mov_b32 s60, 4                                           // 000000002420: BEBC0084
	s_cmp_eq_i32 s60, s86                                      // 000000002424: BF00563C
	s_cbranch_scc1 label_1E20                                  // 000000002428: BF851D95
	s_mul_i32 s60, s3, s65                                     // 00000000242C: 923C4103
	s_mul_i32 s60, s60, 4                                      // 000000002430: 923C843C
	s_add_u32 s24, s60, s24                                    // 000000002434: 8018183C
	s_addc_u32 s25, 0, s25                                     // 000000002438: 82191980
	s_mov_b32 s56, 64                                          // 00000000243C: BEB800C0
	s_add_u32 s73, s72, 15                                     // 000000002440: 80498F48
	s_lshr_b32 s73, s73, 4                                     // 000000002444: 8F498449
	s_mul_i32 s60, s73, 4                                      // 000000002448: 923C8449
	s_mov_b32 s26, s60                                         // 00000000244C: BE9A003C
	v_and_b32_e32 v42, 3, v0                                   // 000000002450: 26540083
	v_cmp_eq_u32_e64 s[60:61], 0, v42                          // 000000002454: D0CA003C 00025480
	v_and_b32_e32 v41, 12, v0                                  // 00000000245C: 2652008C
	v_add_u32_e32 v1, s7, v41                                  // 000000002460: 68025207
	v_cndmask_b32_e64 v1, 0, v1, s[60:61]                      // 000000002464: D1000001 00F20280
	v_and_b32_e32 v42, 3, v0                                   // 00000000246C: 26540083
	v_cmp_eq_u32_e64 s[60:61], 1, v42                          // 000000002470: D0CA003C 00025481
	v_lshrrev_b32_e32 v41, 4, v0                               // 000000002478: 20520084
	v_and_b32_e32 v42, 12, v0                                  // 00000000247C: 2654008C
	v_add_u32_e32 v41, v42, v41                                // 000000002480: 6852532A
	v_cndmask_b32_e64 v41, 0, v41, s[60:61]                    // 000000002484: D1000029 00F25280
	v_add_u32_e32 v1, v1, v41                                  // 00000000248C: 68025301
	v_lshlrev_b32_e32 v1, 2, v1                                // 000000002490: 24020282
	buffer_load_dword v19, v1, s[24:27], 0 offen               // 000000002494: E0501000 80061301
	v_add_u32_e32 v1, s56, v1                                  // 00000000249C: 68020238
	buffer_load_dword v20, v1, s[24:27], 0 offen               // 0000000024A0: E0501000 80061401
	s_cmp_le_u32 s73, 32                                       // 0000000024A8: BF0BA049
	s_cselect_b32 s56, 0, s56                                  // 0000000024AC: 85383880
	s_mul_i32 s60, s2, s67                                     // 0000000024B0: 923C4302
	s_mul_i32 s61, s84, s74                                    // 0000000024B4: 923D4A54
	s_add_u32 s60, s60, s61                                    // 0000000024B8: 803C3D3C
	s_add_u32 s12, s60, s12                                    // 0000000024BC: 800C0C3C
	s_addc_u32 s13, 0, s13                                     // 0000000024C0: 820D0D80
	s_mul_i32 s60, s7, 0x108                                   // 0000000024C4: 923CFF07 00000108
	s_add_u32 m0, 0, s60                                       // 0000000024CC: 807C3C80
	s_mul_i32 s60, s7, 0x100                                   // 0000000024D0: 923CFF07 00000100
	v_lshlrev_b32_e32 v41, 2, v0                               // 0000000024D8: 24520082
	v_add_u32_e64 v41, v41, s60                                // 0000000024DC: D1340029 00007929
	buffer_load_dword v41, s[12:15], 0 offen lds               // 0000000024E4: E0511000 80030029
	s_mul_i32 s60, 4, 0x108                                    // 0000000024EC: 923CFF84 00000108
	s_add_u32 m0, m0, s60                                      // 0000000024F4: 807C3C7C
	v_add_u32_e32 v41, 0x400, v41                              // 0000000024F8: 685252FF 00000400
	buffer_load_dword v41, s[12:15], 0 offen lds               // 000000002500: E0511000 80030029
	s_mul_i32 s60, 4, 0x108                                    // 000000002508: 923CFF84 00000108
	s_add_u32 m0, m0, s60                                      // 000000002510: 807C3C7C
	v_add_u32_e32 v41, 0x400, v41                              // 000000002514: 685252FF 00000400
	s_mul_i32 s60, s7, 0x108                                   // 00000000251C: 923CFF07 00000108
	v_lshlrev_b32_e32 v41, 2, v0                               // 000000002524: 24520082
	v_add_u32_e64 v41, v41, s60                                // 000000002528: D1340029 00007929
	v_mov_b32_e32 v42, 0                                       // 000000002530: 7E540280
	ds_write_b32 v41, v42 offset:2112                          // 000000002534: D81A0840 00002A29
	ds_write_b32 v41, v42 offset:3168                          // 00000000253C: D81A0C60 00002A29
	v_lshrrev_b32_e32 v41, 4, v0                               // 000000002544: 20520084
	v_lshlrev_b32_e32 v41, 2, v41                              // 000000002548: 24525282
	v_and_b32_e32 v42, 3, v0                                   // 00000000254C: 26540083
	v_add_u32_e32 v41, v42, v41                                // 000000002550: 6852532A
	v_lshlrev_b32_e32 v74, 2, v41                              // 000000002554: 24945282
	v_mov_b32_e32 v75, v74                                     // 000000002558: 7E96034A
	s_mul_i32 s60, s2, 64                                      // 00000000255C: 923CC002
	s_add_u32 s32, s60, s32                                    // 000000002560: 8020203C
	s_addc_u32 s33, 0, s33                                     // 000000002564: 82212180
	s_add_u32 s36, s60, s36                                    // 000000002568: 8024243C
	s_addc_u32 s37, 0, s37                                     // 00000000256C: 82252580
	s_mul_i32 s60, s2, s76                                     // 000000002570: 923C4C02
	s_mul_i32 s61, s84, s75                                    // 000000002574: 923D4B54
	s_add_u32 s60, s60, s61                                    // 000000002578: 803C3D3C
	s_add_u32 s8, s60, s8                                      // 00000000257C: 8008083C
	s_addc_u32 s9, 0, s9                                       // 000000002580: 82090980
	s_mul_i32 s60, s7, 0x100                                   // 000000002584: 923CFF07 00000100
	v_lshlrev_b32_e32 v8, 2, v0                                // 00000000258C: 24100082
	v_add_u32_e64 v8, v8, s60                                  // 000000002590: D1340008 00007908
	s_mov_b32 s70, 0                                           // 000000002598: BEC60080
	s_and_b32 s71, s72, 0xffffff00                             // 00000000259C: 8647FF48 FFFFFF00
	s_mov_b32 s42, 0xff00ff00                                  // 0000000025A4: BEAA00FF FF00FF00
	s_mov_b32 s43, 0xff00ff00                                  // 0000000025AC: BEAB00FF FF00FF00
	s_mov_b32 s44, 0xf0f0f0f0                                  // 0000000025B4: BEAC00FF F0F0F0F0
	s_mov_b32 s45, 0xf0f0f0f0                                  // 0000000025BC: BEAD00FF F0F0F0F0
	v_mul_i32_i24_e64 v78, 64, s66                             // 0000000025C4: D106004E 000084C0
	v_mov_b32_e32 v68, s68                                     // 0000000025CC: 7E880244
	v_mov_b32_e32 v9, -1                                       // 0000000025D0: 7E1202C1
	s_mov_b32 s52, 0x7060302                                   // 0000000025D4: BEB400FF 07060302
	s_mov_b32 s53, 0x400                                       // 0000000025DC: BEB500FF 00000400
	s_mov_b32 s54, 0x40100                                     // 0000000025E4: BEB600FF 00040100
	s_mov_b32 s55, 0x4020100                                   // 0000000025EC: BEB700FF 04020100
	v_mov_b32_dpp v9, v9 row_shl:8 row_mask:0xf bank_mask:0xf bound_ctrl:1// 0000000025F4: 7E1202FA FF090809
	s_mov_b32 s6, 0x3fb8aa3b                                   // 0000000025FC: BE8600FF 3FB8AA3B
	v_mov_b32_e32 v14, 0xff800000                              // 000000002604: 7E1C02FF FF800000
	v_mov_b32_e32 v69, 0xff800000                              // 00000000260C: 7E8A02FF FF800000
	v_mov_b32_e32 v63, 0                                       // 000000002614: 7E7E0280
	v_mov_b32_e32 v47, 0                                       // 000000002618: 7E5E0280
	v_mov_b32_e32 v58, 0                                       // 00000000261C: 7E740280
	v_mov_b32_e32 v22, 0xffff0000                              // 000000002620: 7E2C02FF FFFF0000
	v_mov_b32_e32 v23, 0x7fff0000                              // 000000002628: 7E2E02FF 7FFF0000
	v_mov_b32_e32 v24, 0x7fff                                  // 000000002630: 7E3002FF 00007FFF
	v_add_u32_e32 v1, s56, v1                                  // 000000002638: 68020238
	v_and_b32_e32 v10, 15, v0                                  // 00000000263C: 2614008F
	v_lshlrev_b32_e32 v10, 2, v10                              // 000000002640: 24141482
	v_lshlrev_b32_e32 v11, 2, v0                               // 000000002644: 24160082
	s_mul_i32 s60, 0x100, s7                                   // 000000002648: 923C07FF 00000100
	v_add_u32_e32 v11, s60, v11                                // 000000002650: 6816163C
	v_lshrrev_b32_e32 v41, 4, v0                               // 000000002654: 20520084
	v_lshlrev_b32_e32 v42, 6, v41                              // 000000002658: 24545286
	v_and_b32_e32 v41, 15, v0                                  // 00000000265C: 2652008F
	v_lshlrev_b32_e32 v41, 1, v41                              // 000000002660: 24525281
	v_add_u32_e32 v42, v41, v42                                // 000000002664: 68545529
	v_lshlrev_b32_e32 v12, 2, v42                              // 000000002668: 24185482
	v_lshrrev_b32_e32 v41, 5, v0                               // 00000000266C: 20520085
	v_lshlrev_b32_e32 v42, 5, v41                              // 000000002670: 24545285
	v_and_b32_e32 v41, 31, v0                                  // 000000002674: 2652009F
	v_lshrrev_b32_e32 v43, 4, v41                              // 000000002678: 20565284
	v_add_u32_e32 v42, v43, v42                                // 00000000267C: 6854552B
	v_and_b32_e32 v41, 15, v0                                  // 000000002680: 2652008F
	v_lshlrev_b32_e32 v41, 1, v41                              // 000000002684: 24525281
	v_add_u32_e32 v42, v41, v42                                // 000000002688: 68545529
	v_lshlrev_b32_e32 v41, 2, v42                              // 00000000268C: 24525482
	s_mul_i32 s60, 0x100, s7                                   // 000000002690: 923C07FF 00000100
	v_add_u32_e64 v13, v41, s60                                // 000000002698: D134000D 00007929
	v_lshlrev_b32_e32 v6, 4, v0                                // 0000000026A0: 240C0084
	s_mul_i32 s60, s2, s69                                     // 0000000026A4: 923C4502
	s_add_u32 s16, s60, s16                                    // 0000000026A8: 8010103C
	s_addc_u32 s17, 0, s17                                     // 0000000026AC: 82111180
	v_and_b32_e32 v41, 15, v0                                  // 0000000026B0: 2652008F
	v_lshlrev_b32_e32 v7, 4, v41                               // 0000000026B4: 240E5284
	s_mul_i32 s61, s2, s69                                     // 0000000026B8: 923D4502
	s_mul_i32 s60, s7, 0x100                                   // 0000000026BC: 923CFF07 00000100
	s_add_u32 s60, s60, s61                                    // 0000000026C4: 803C3D3C
	s_add_u32 s20, s60, s20                                    // 0000000026C8: 8014143C
	s_addc_u32 s21, 0, s21                                     // 0000000026CC: 82151580
	s_waitcnt vmcnt(2)                                         // 0000000026D0: BF8C0F72
	v_mul_u32_u24_dpp v41, v19, v68 row_newbcast:0 row_mask:0xf bank_mask:0xf// 0000000026D4: 105288FA FF015013
	v_mul_u32_u24_dpp v42, v19, v68 row_newbcast:4 row_mask:0xf bank_mask:0xf// 0000000026DC: 105488FA FF015413
	v_mul_u32_u24_dpp v43, v19, v68 row_newbcast:8 row_mask:0xf bank_mask:0xf// 0000000026E4: 105688FA FF015813
	v_mul_u32_u24_dpp v44, v19, v68 row_newbcast:12 row_mask:0xf bank_mask:0xf// 0000000026EC: 105888FA FF015C13
	v_add_u32_e32 v25, v41, v6                                 // 0000000026F4: 68320D29
	v_add_u32_e32 v26, v42, v6                                 // 0000000026F8: 68340D2A
	v_add_u32_e32 v27, v43, v6                                 // 0000000026FC: 68360D2B
	v_add_u32_e32 v28, v44, v6                                 // 000000002700: 68380D2C
	v_mul_u32_u24_dpp v41, v19, v68 row_newbcast:1 row_mask:0xf bank_mask:0xf// 000000002704: 105288FA FF015113
	v_mul_u32_u24_dpp v42, v19, v68 row_newbcast:5 row_mask:0xf bank_mask:0xf// 00000000270C: 105488FA FF015513
	v_mul_u32_u24_dpp v43, v19, v68 row_newbcast:9 row_mask:0xf bank_mask:0xf// 000000002714: 105688FA FF015913
	v_mul_u32_u24_dpp v44, v19, v68 row_newbcast:13 row_mask:0xf bank_mask:0xf// 00000000271C: 105888FA FF015D13
	v_add_u32_e32 v33, v41, v7                                 // 000000002724: 68420F29
	v_add_u32_e32 v34, v42, v7                                 // 000000002728: 68440F2A
	v_add_u32_e32 v35, v43, v7                                 // 00000000272C: 68460F2B
	v_add_u32_e32 v36, v44, v7                                 // 000000002730: 68480F2C
	v_mul_u32_u24_dpp v41, v19, v78 quad_perm:[0,0,0,0] row_mask:0xf bank_mask:0xf// 000000002734: 10529CFA FF000013
	v_add_u32_e32 v2, v41, v74                                 // 00000000273C: 68049529
	v_mul_u32_u24_dpp v41, v19, v78 quad_perm:[0,0,0,0] row_mask:0xf bank_mask:0xf// 000000002740: 10529CFA FF000013
	v_add_u32_e32 v70, v41, v75                                // 000000002748: 688C9729
	buffer_load_dword v52, v2, s[32:35], 0 offen               // 00000000274C: E0501000 80083402
	buffer_load_dwordx4 a[0:3], v25, s[16:19], 0 offen         // 000000002754: E05C1000 80840019
	buffer_load_dwordx4 a[4:7], v25, s[16:19], 0 offen offset:1024// 00000000275C: E05C1400 80840419
	buffer_load_dwordx4 a[8:11], v26, s[16:19], 0 offen        // 000000002764: E05C1000 8084081A
	buffer_load_dwordx4 a[12:15], v26, s[16:19], 0 offen offset:1024// 00000000276C: E05C1400 80840C1A
	buffer_load_dwordx4 a[16:19], v27, s[16:19], 0 offen       // 000000002774: E05C1000 8084101B
	buffer_load_dwordx4 a[20:23], v27, s[16:19], 0 offen offset:1024// 00000000277C: E05C1400 8084141B
	buffer_load_dwordx4 a[24:27], v28, s[16:19], 0 offen       // 000000002784: E05C1000 8084181C
	buffer_load_dwordx4 a[28:31], v28, s[16:19], 0 offen offset:1024// 00000000278C: E05C1400 80841C1C
	buffer_load_dword v72, v70, s[36:39], 0 offen              // 000000002794: E0501000 80094846
	buffer_load_dwordx4 a[64:67], v33, s[20:23], 0 offen       // 00000000279C: E05C1000 80854021
	buffer_load_dwordx4 a[68:71], v34, s[20:23], 0 offen       // 0000000027A4: E05C1000 80854422
	buffer_load_dwordx4 a[72:75], v35, s[20:23], 0 offen       // 0000000027AC: E05C1000 80854823
	buffer_load_dwordx4 a[76:79], v36, s[20:23], 0 offen       // 0000000027B4: E05C1000 80854C24
	buffer_load_dwordx4 a[80:83], v33, s[20:23], 0 offen offset:1024// 0000000027BC: E05C1400 80855021
	buffer_load_dwordx4 a[84:87], v34, s[20:23], 0 offen offset:1024// 0000000027C4: E05C1400 80855422
	buffer_load_dwordx4 a[88:91], v35, s[20:23], 0 offen offset:1024// 0000000027CC: E05C1400 80855823
	buffer_load_dwordx4 a[92:95], v36, s[20:23], 0 offen offset:1024// 0000000027D4: E05C1400 80855C24
	v_lshrrev_b32_e32 v41, 4, v0                               // 0000000027DC: 20520084
	v_lshlrev_b32_e32 v42, 1, v41                              // 0000000027E0: 24545281
	v_and_b32_e32 v41, 15, v0                                  // 0000000027E4: 2652008F
	v_mul_i32_i24_e32 v41, 0x42, v41                           // 0000000027E8: 0C5252FF 00000042
	v_add_u32_e32 v42, v41, v42                                // 0000000027F0: 68545529
	v_lshlrev_b32_e32 v4, 2, v42                               // 0000000027F4: 24085482
	s_mul_i32 s60, s7, 32                                      // 0000000027F8: 923CA007
	v_add_u32_e32 v4, s60, v4                                  // 0000000027FC: 6808083C
	s_waitcnt vmcnt(16) lgkmcnt(0)                             // 000000002800: BF8C4070
	s_barrier                                                  // 000000002804: BF8A0000
	ds_read_b64 v[96:97], v4                                   // 000000002808: D8EC0000 60000004
	ds_read_b64 v[100:101], v4 offset:128                      // 000000002810: D8EC0080 64000004
	s_waitcnt lgkmcnt(0)                                       // 000000002818: BF8CC07F
	v_and_b32_e32 v41, 0xffff, v96                             // 00000000281C: 2652C0FF 0000FFFF
	v_lshrrev_b32_e32 v42, 16, v96                             // 000000002824: 2054C090
	v_and_b32_e32 v43, 0xffff, v97                             // 000000002828: 2656C2FF 0000FFFF
	v_lshrrev_b32_e32 v44, 16, v97                             // 000000002830: 2058C290
	v_cvt_f32_f16_e32 v96, v41                                 // 000000002834: 7EC01729
	v_cvt_f32_f16_e32 v97, v42                                 // 000000002838: 7EC2172A
	v_cvt_f32_f16_e32 v98, v43                                 // 00000000283C: 7EC4172B
	v_cvt_f32_f16_e32 v99, v44                                 // 000000002840: 7EC6172C
	v_and_b32_e32 v41, 0xffff, v100                            // 000000002844: 2652C8FF 0000FFFF
	v_lshrrev_b32_e32 v42, 16, v100                            // 00000000284C: 2054C890
	v_and_b32_e32 v43, 0xffff, v101                            // 000000002850: 2656CAFF 0000FFFF
	v_lshrrev_b32_e32 v44, 16, v101                            // 000000002858: 2058CA90
	v_cvt_f32_f16_e32 v100, v41                                // 00000000285C: 7EC81729
	v_cvt_f32_f16_e32 v101, v42                                // 000000002860: 7ECA172A
	v_cvt_f32_f16_e32 v102, v43                                // 000000002864: 7ECC172B
	v_cvt_f32_f16_e32 v103, v44                                // 000000002868: 7ECE172C
	v_mov_b32_e32 v62, 0x358637bd                              // 00000000286C: 7E7C02FF 358637BD
	v_max3_f32 v62, |v96|, |v97|, v62                          // 000000002874: D1D3033E 04FAC360
	v_max3_f32 v62, |v98|, |v99|, v62                          // 00000000287C: D1D3033E 04FAC762
	v_max3_f32 v62, |v100|, |v101|, v62                        // 000000002884: D1D3033E 04FACB64
	v_max3_f32 v62, |v102|, |v103|, v62                        // 00000000288C: D1D3033E 04FACF66
	ds_write_b32 v11, v62 offset:16896                         // 000000002894: D81A4200 00003E0B
	s_waitcnt lgkmcnt(0)                                       // 00000000289C: BF8CC07F
	s_barrier                                                  // 0000000028A0: BF8A0000
	ds_read_b32 v80, v10 offset:16896                          // 0000000028A4: D86C4200 5000000A
	ds_read_b32 v81, v10 offset:16960                          // 0000000028AC: D86C4240 5100000A
	ds_read_b32 v82, v10 offset:17024                          // 0000000028B4: D86C4280 5200000A
	ds_read_b32 v83, v10 offset:17088                          // 0000000028BC: D86C42C0 5300000A
	ds_read_b32 v84, v10 offset:17152                          // 0000000028C4: D86C4300 5400000A
	ds_read_b32 v85, v10 offset:17216                          // 0000000028CC: D86C4340 5500000A
	ds_read_b32 v86, v10 offset:17280                          // 0000000028D4: D86C4380 5600000A
	ds_read_b32 v87, v10 offset:17344                          // 0000000028DC: D86C43C0 5700000A
	ds_read_b32 v88, v10 offset:17408                          // 0000000028E4: D86C4400 5800000A
	ds_read_b32 v89, v10 offset:17472                          // 0000000028EC: D86C4440 5900000A
	ds_read_b32 v90, v10 offset:17536                          // 0000000028F4: D86C4480 5A00000A
	ds_read_b32 v91, v10 offset:17600                          // 0000000028FC: D86C44C0 5B00000A
	ds_read_b32 v92, v10 offset:17664                          // 000000002904: D86C4500 5C00000A
	ds_read_b32 v93, v10 offset:17728                          // 00000000290C: D86C4540 5D00000A
	ds_read_b32 v94, v10 offset:17792                          // 000000002914: D86C4580 5E00000A
	ds_read_b32 v95, v10 offset:17856                          // 00000000291C: D86C45C0 5F00000A
	s_waitcnt lgkmcnt(0)                                       // 000000002924: BF8CC07F
	v_max3_f32 v62, |v80|, |v81|, v62                          // 000000002928: D1D3033E 04FAA350
	v_max3_f32 v62, |v82|, |v83|, v62                          // 000000002930: D1D3033E 04FAA752
	v_max3_f32 v62, |v84|, |v85|, v62                          // 000000002938: D1D3033E 04FAAB54
	v_max3_f32 v62, |v86|, |v87|, v62                          // 000000002940: D1D3033E 04FAAF56
	v_max3_f32 v62, |v88|, |v89|, v62                          // 000000002948: D1D3033E 04FAB358
	v_max3_f32 v62, |v90|, |v91|, v62                          // 000000002950: D1D3033E 04FAB75A
	v_max3_f32 v62, |v92|, |v93|, v62                          // 000000002958: D1D3033E 04FABB5C
	v_max3_f32 v62, |v94|, |v95|, v62                          // 000000002960: D1D3033E 04FABF5E
	v_rcp_f32_e32 v62, v62                                     // 000000002968: 7E7C453E
	s_nop 1                                                    // 00000000296C: BF800001
	v_mul_f32_e32 v62, 0x43700000, v62                         // 000000002970: 0A7C7CFF 43700000
	v_mul_f32_e32 v96, v62, v96                                // 000000002978: 0AC0C13E
	v_mul_f32_e32 v97, v62, v97                                // 00000000297C: 0AC2C33E
	v_mul_f32_e32 v98, v62, v98                                // 000000002980: 0AC4C53E
	v_mul_f32_e32 v99, v62, v99                                // 000000002984: 0AC6C73E
	v_mul_f32_e32 v100, v62, v100                              // 000000002988: 0AC8C93E
	v_mul_f32_e32 v101, v62, v101                              // 00000000298C: 0ACACB3E
	v_mul_f32_e32 v102, v62, v102                              // 000000002990: 0ACCCD3E
	v_mul_f32_e32 v103, v62, v103                              // 000000002994: 0ACECF3E
	v_rcp_f32_e32 v54, v62                                     // 000000002998: 7E6C453E
	v_cvt_pk_fp8_f32 v96, v96, v97                             // 00000000299C: D2A20060 0002C360
	v_cvt_pk_fp8_f32 v96, v98, v99 op_sel:[0,0,1]              // 0000000029A4: D2A24060 0002C762
	v_cvt_pk_fp8_f32 v97, v100, v101                           // 0000000029AC: D2A20061 0002CB64
	v_cvt_pk_fp8_f32 v97, v102, v103 op_sel:[0,0,1]            // 0000000029B4: D2A24061 0002CF66
	ds_write_b32 v13, v96 offset:25088                         // 0000000029BC: D81A6200 0000600D
	ds_write_b32 v13, v97 offset:26112                         // 0000000029C4: D81A6600 0000610D
	s_waitcnt lgkmcnt(0)                                       // 0000000029CC: BF8CC07F
	s_barrier                                                  // 0000000029D0: BF8A0000
	v_and_b32_e32 v54, v9, v54                                 // 0000000029D4: 266C6D09
	ds_read_b64 v[96:97], v12 offset:25088                     // 0000000029D8: D8EC6200 6000000C
	ds_read_b64 v[98:99], v12 offset:25216                     // 0000000029E0: D8EC6280 6200000C
	ds_read_b64 v[100:101], v12 offset:26112                   // 0000000029E8: D8EC6600 6400000C
	ds_read_b64 v[102:103], v12 offset:26240                   // 0000000029F0: D8EC6680 6600000C
	v_mov_b32_e32 v224, 0                                      // 0000000029F8: 7FC00280
	v_mov_b32_e32 v225, 0                                      // 0000000029FC: 7FC20280
	v_mov_b32_e32 v226, 0                                      // 000000002A00: 7FC40280
	v_mov_b32_e32 v227, 0                                      // 000000002A04: 7FC60280
	v_mov_b32_e32 v192, 0                                      // 000000002A08: 7F800280
	v_mov_b32_e32 v193, 0                                      // 000000002A0C: 7F820280
	v_mov_b32_e32 v194, 0                                      // 000000002A10: 7F840280
	v_mov_b32_e32 v195, 0                                      // 000000002A14: 7F860280
	v_mov_b32_e32 v196, 0                                      // 000000002A18: 7F880280
	v_mov_b32_e32 v197, 0                                      // 000000002A1C: 7F8A0280
	v_mov_b32_e32 v198, 0                                      // 000000002A20: 7F8C0280
	v_mov_b32_e32 v199, 0                                      // 000000002A24: 7F8E0280
	v_or_b32_dpp v54, v54, v54 row_shr:8 row_mask:0xf bank_mask:0xf bound_ctrl:1// 000000002A28: 286C6CFA FF091836
	s_waitcnt vmcnt(8) lgkmcnt(0)                              // 000000002A30: BF8C0078
	s_barrier                                                  // 000000002A34: BF8A0000
	s_cmp_lt_u32 s73, 16                                       // 000000002A38: BF0A9049
	s_cbranch_scc1 label_097F                                  // 000000002A3C: BF85076F
	s_cmp_lt_i32 s7, 2                                         // 000000002A40: BF048207
	s_cbranch_scc0 label_05CA                                  // 000000002A44: BF8403B8

0000000000002a48 <label_0212>:
	s_waitcnt vmcnt(8) lgkmcnt(0)                              // 000000002A48: BF8C0078
	v_mul_u32_u24_dpp v41, v20, v68 row_newbcast:0 row_mask:0xf bank_mask:0xf// 000000002A4C: 105288FA FF015014
	v_mul_u32_u24_dpp v42, v20, v68 row_newbcast:4 row_mask:0xf bank_mask:0xf// 000000002A54: 105488FA FF015414
	v_mul_u32_u24_dpp v43, v20, v68 row_newbcast:8 row_mask:0xf bank_mask:0xf// 000000002A5C: 105688FA FF015814
	v_mul_u32_u24_dpp v44, v20, v68 row_newbcast:12 row_mask:0xf bank_mask:0xf// 000000002A64: 105888FA FF015C14
	v_add_u32_e32 v29, v41, v6                                 // 000000002A6C: 683A0D29
	v_add_u32_e32 v30, v42, v6                                 // 000000002A70: 683C0D2A
	v_add_u32_e32 v31, v43, v6                                 // 000000002A74: 683E0D2B
	v_add_u32_e32 v32, v44, v6                                 // 000000002A78: 68400D2C
	v_mul_u32_u24_dpp v41, v20, v78 quad_perm:[0,0,0,0] row_mask:0xf bank_mask:0xf// 000000002A7C: 10529CFA FF000014
	v_add_u32_e32 v3, v41, v74                                 // 000000002A84: 68069529
	v_mul_u32_u24_dpp v41, v20, v78 quad_perm:[0,0,0,0] row_mask:0xf bank_mask:0xf// 000000002A88: 10529CFA FF000014
	v_add_u32_e32 v71, v41, v75                                // 000000002A90: 688E9729
	v_mfma_f32_16x16x32_fp8_fp8 v[128:131], a[0:1], v[96:97], 0// 000000002A94: D3F30080 0A02C100
	v_mfma_f32_16x16x32_fp8_fp8 v[128:131], a[2:3], v[98:99], v[128:131]// 000000002A9C: D3F30080 0E02C502
	buffer_load_dwordx4 a[32:35], v29, s[16:19], 0 offen       // 000000002AA4: E05C1000 8084201D
	v_mfma_f32_16x16x32_fp8_fp8 v[128:131], a[4:5], v[100:101], v[128:131]// 000000002AAC: D3F30080 0E02C904
	v_mfma_f32_16x16x32_fp8_fp8 v[128:131], a[6:7], v[102:103], v[128:131]// 000000002AB4: D3F30080 0E02CD06
	buffer_load_dword v19, v1, s[24:27], 0 offen               // 000000002ABC: E0501000 80061301
	v_mfma_f32_16x16x32_fp8_fp8 v[132:135], a[8:9], v[96:97], 0// 000000002AC4: D3F30084 0A02C108
	v_mfma_f32_16x16x32_fp8_fp8 v[132:135], a[10:11], v[98:99], v[132:135]// 000000002ACC: D3F30084 0E12C50A
	buffer_load_dwordx4 a[36:39], v29, s[16:19], 0 offen offset:1024// 000000002AD4: E05C1400 8084241D
	v_mfma_f32_16x16x32_fp8_fp8 v[132:135], a[12:13], v[100:101], v[132:135]// 000000002ADC: D3F30084 0E12C90C
	v_mfma_f32_16x16x32_fp8_fp8 v[132:135], a[14:15], v[102:103], v[132:135]// 000000002AE4: D3F30084 0E12CD0E
	v_mfma_f32_16x16x32_fp8_fp8 v[136:139], a[16:17], v[96:97], 0// 000000002AEC: D3F30088 0A02C110
	v_mfma_f32_16x16x32_fp8_fp8 v[136:139], a[18:19], v[98:99], v[136:139]// 000000002AF4: D3F30088 0E22C512
	buffer_load_dwordx4 a[40:43], v30, s[16:19], 0 offen       // 000000002AFC: E05C1000 8084281E
	v_mfma_f32_16x16x32_fp8_fp8 v[136:139], a[20:21], v[100:101], v[136:139]// 000000002B04: D3F30088 0E22C914
	v_mfma_f32_16x16x32_fp8_fp8 v[136:139], a[22:23], v[102:103], v[136:139]// 000000002B0C: D3F30088 0E22CD16
	v_mfma_f32_16x16x32_fp8_fp8 v[140:143], a[24:25], v[96:97], 0// 000000002B14: D3F3008C 0A02C118
	v_mfma_f32_16x16x32_fp8_fp8 v[140:143], a[26:27], v[98:99], v[140:143]// 000000002B1C: D3F3008C 0E32C51A
	buffer_load_dwordx4 a[44:47], v30, s[16:19], 0 offen offset:1024// 000000002B24: E05C1400 80842C1E
	v_mfma_f32_16x16x32_fp8_fp8 v[140:143], a[28:29], v[100:101], v[140:143]// 000000002B2C: D3F3008C 0E32C91C
	v_mfma_f32_16x16x32_fp8_fp8 v[140:143], a[30:31], v[102:103], v[140:143]// 000000002B34: D3F3008C 0E32CD1E
	buffer_load_dword v53, v3, s[32:35], 0 offen               // 000000002B3C: E0501000 80083503
	v_mov_b32_dpp v41, v52 row_shr:4 row_mask:0xf bank_mask:0xf// 000000002B44: 7E5202FA FF011434
	v_mov_b32_dpp v42, v52 row_shl:4 row_mask:0xf bank_mask:0xf// 000000002B4C: 7E5402FA FF010434
	v_cndmask_b32_e64 v248, v52, v41, s[44:45]                 // 000000002B54: D10000F8 00B25334
	v_cndmask_b32_e64 v249, v42, v52, s[44:45]                 // 000000002B5C: D10000F9 00B2692A
	v_mov_b32_dpp v41, v72 row_shr:4 row_mask:0xf bank_mask:0xf// 000000002B64: 7E5202FA FF011448
	v_mov_b32_dpp v42, v72 row_shl:4 row_mask:0xf bank_mask:0xf// 000000002B6C: 7E5402FA FF010448
	v_cndmask_b32_e64 v252, v72, v41, s[44:45]                 // 000000002B74: D10000FC 00B25348
	v_cndmask_b32_e64 v253, v42, v72, s[44:45]                 // 000000002B7C: D10000FD 00B2912A
	v_or_b32_dpp v128, v136, v128 row_shr:8 row_mask:0xf bank_mask:0xf bound_ctrl:1// 000000002B84: 290100FA FF091888
	v_or_b32_dpp v129, v137, v129 row_shr:8 row_mask:0xf bank_mask:0xf bound_ctrl:1// 000000002B8C: 290302FA FF091889
	v_or_b32_dpp v130, v138, v130 row_shr:8 row_mask:0xf bank_mask:0xf bound_ctrl:1// 000000002B94: 290504FA FF09188A
	v_or_b32_dpp v131, v139, v131 row_shr:8 row_mask:0xf bank_mask:0xf bound_ctrl:1// 000000002B9C: 290706FA FF09188B
	v_or_b32_dpp v132, v140, v132 row_shr:8 row_mask:0xf bank_mask:0xf bound_ctrl:1// 000000002BA4: 290908FA FF09188C
	v_or_b32_dpp v133, v141, v133 row_shr:8 row_mask:0xf bank_mask:0xf bound_ctrl:1// 000000002BAC: 290B0AFA FF09188D
	v_or_b32_dpp v134, v142, v134 row_shr:8 row_mask:0xf bank_mask:0xf bound_ctrl:1// 000000002BB4: 290D0CFA FF09188E
	v_or_b32_dpp v135, v143, v135 row_shr:8 row_mask:0xf bank_mask:0xf bound_ctrl:1// 000000002BBC: 290F0EFA FF09188F
	buffer_load_dword v73, v71, s[36:39], 0 offen              // 000000002BC4: E0501000 80094947
	v_mul_f32_e32 v128, v54, v128                              // 000000002BCC: 0B010136
	v_mul_f32_e32 v129, v54, v129                              // 000000002BD0: 0B030336
	v_mul_f32_e32 v130, v54, v130                              // 000000002BD4: 0B050536
	v_mul_f32_e32 v131, v54, v131                              // 000000002BD8: 0B070736
	v_mul_f32_e32 v132, v54, v132                              // 000000002BDC: 0B090936
	v_mul_f32_e32 v133, v54, v133                              // 000000002BE0: 0B0B0B36
	v_mul_f32_e32 v134, v54, v134                              // 000000002BE4: 0B0D0D36
	v_mul_f32_e32 v135, v54, v135                              // 000000002BE8: 0B0F0F36
	buffer_load_dwordx4 a[48:51], v31, s[16:19], 0 offen       // 000000002BEC: E05C1000 8084301F
	v_mul_f32_dpp v128, v248, v128 quad_perm:[0,0,0,0] row_mask:0xf bank_mask:0xf// 000000002BF4: 0B0100FA FF0000F8
	v_mul_f32_dpp v129, v248, v129 quad_perm:[1,1,1,1] row_mask:0xf bank_mask:0xf// 000000002BFC: 0B0302FA FF0055F8
	v_mul_f32_dpp v130, v248, v130 quad_perm:[2,2,2,2] row_mask:0xf bank_mask:0xf// 000000002C04: 0B0504FA FF00AAF8
	v_mul_f32_dpp v131, v248, v131 quad_perm:[3,3,3,3] row_mask:0xf bank_mask:0xf// 000000002C0C: 0B0706FA FF00FFF8
	v_mul_f32_dpp v132, v249, v132 quad_perm:[0,0,0,0] row_mask:0xf bank_mask:0xf// 000000002C14: 0B0908FA FF0000F9
	v_mul_f32_dpp v133, v249, v133 quad_perm:[1,1,1,1] row_mask:0xf bank_mask:0xf// 000000002C1C: 0B0B0AFA FF0055F9
	v_mul_f32_dpp v134, v249, v134 quad_perm:[2,2,2,2] row_mask:0xf bank_mask:0xf// 000000002C24: 0B0D0CFA FF00AAF9
	v_mul_f32_dpp v135, v249, v135 quad_perm:[3,3,3,3] row_mask:0xf bank_mask:0xf// 000000002C2C: 0B0F0EFA FF00FFF9
	buffer_load_dwordx4 a[52:55], v31, s[16:19], 0 offen offset:1024// 000000002C34: E05C1400 8084341F
	v_mov_b32_e32 v62, v128                                    // 000000002C3C: 7E7C0380
	v_max3_f32 v62, v128, v129, v62                            // 000000002C40: D1D3003E 04FB0380
	v_max3_f32 v62, v130, v131, v62                            // 000000002C48: D1D3003E 04FB0782
	v_max3_f32 v62, v132, v133, v62                            // 000000002C50: D1D3003E 04FB0B84
	v_max3_f32 v62, v134, v135, v62                            // 000000002C58: D1D3003E 04FB0F86
	ds_write_b32 v11, v62 offset:16896                         // 000000002C60: D81A4200 00003E0B
	buffer_load_dwordx4 a[56:59], v32, s[16:19], 0 offen       // 000000002C68: E05C1000 80843820
	v_mul_u32_u24_dpp v41, v20, v68 row_newbcast:1 row_mask:0xf bank_mask:0xf// 000000002C70: 105288FA FF015114
	v_mul_u32_u24_dpp v42, v20, v68 row_newbcast:5 row_mask:0xf bank_mask:0xf// 000000002C78: 105488FA FF015514
	v_mul_u32_u24_dpp v43, v20, v68 row_newbcast:9 row_mask:0xf bank_mask:0xf// 000000002C80: 105688FA FF015914
	v_mul_u32_u24_dpp v44, v20, v68 row_newbcast:13 row_mask:0xf bank_mask:0xf// 000000002C88: 105888FA FF015D14
	v_add_u32_e32 v37, v41, v7                                 // 000000002C90: 684A0F29
	v_add_u32_e32 v38, v42, v7                                 // 000000002C94: 684C0F2A
	v_add_u32_e32 v39, v43, v7                                 // 000000002C98: 684E0F2B
	v_add_u32_e32 v40, v44, v7                                 // 000000002C9C: 68500F2C
	s_waitcnt lgkmcnt(0)                                       // 000000002CA0: BF8CC07F
	s_barrier                                                  // 000000002CA4: BF8A0000
	ds_read_b32 v80, v10 offset:16896                          // 000000002CA8: D86C4200 5000000A
	ds_read_b32 v81, v10 offset:16960                          // 000000002CB0: D86C4240 5100000A
	ds_read_b32 v82, v10 offset:17024                          // 000000002CB8: D86C4280 5200000A
	ds_read_b32 v83, v10 offset:17088                          // 000000002CC0: D86C42C0 5300000A
	ds_read_b32 v84, v10 offset:17152                          // 000000002CC8: D86C4300 5400000A
	ds_read_b32 v85, v10 offset:17216                          // 000000002CD0: D86C4340 5500000A
	ds_read_b32 v86, v10 offset:17280                          // 000000002CD8: D86C4380 5600000A
	ds_read_b32 v87, v10 offset:17344                          // 000000002CE0: D86C43C0 5700000A
	ds_read_b32 v88, v10 offset:17408                          // 000000002CE8: D86C4400 5800000A
	ds_read_b32 v89, v10 offset:17472                          // 000000002CF0: D86C4440 5900000A
	ds_read_b32 v90, v10 offset:17536                          // 000000002CF8: D86C4480 5A00000A
	ds_read_b32 v91, v10 offset:17600                          // 000000002D00: D86C44C0 5B00000A
	ds_read_b32 v92, v10 offset:17664                          // 000000002D08: D86C4500 5C00000A
	ds_read_b32 v93, v10 offset:17728                          // 000000002D10: D86C4540 5D00000A
	ds_read_b32 v94, v10 offset:17792                          // 000000002D18: D86C4580 5E00000A
	ds_read_b32 v95, v10 offset:17856                          // 000000002D20: D86C45C0 5F00000A
	buffer_load_dwordx4 a[60:63], v32, s[16:19], 0 offen offset:1024// 000000002D28: E05C1400 80843C20
	v_mul_f32_e32 v224, v63, v224                              // 000000002D30: 0BC1C13F
	v_mul_f32_e32 v225, v63, v225                              // 000000002D34: 0BC3C33F
	v_mul_f32_e32 v226, v63, v226                              // 000000002D38: 0BC5C53F
	v_mul_f32_e32 v227, v63, v227                              // 000000002D3C: 0BC7C73F
	v_or_b32_dpp v192, v196, v192 row_shr:8 row_mask:0xf bank_mask:0xf bound_ctrl:1// 000000002D40: 298180FA FF0918C4
	v_or_b32_dpp v193, v197, v193 row_shr:8 row_mask:0xf bank_mask:0xf bound_ctrl:1// 000000002D48: 298382FA FF0918C5
	v_or_b32_dpp v194, v198, v194 row_shr:8 row_mask:0xf bank_mask:0xf bound_ctrl:1// 000000002D50: 298584FA FF0918C6
	v_or_b32_dpp v195, v199, v195 row_shr:8 row_mask:0xf bank_mask:0xf bound_ctrl:1// 000000002D58: 298786FA FF0918C7
	s_waitcnt lgkmcnt(0)                                       // 000000002D60: BF8CC07F
	v_max3_f32 v62, v80, v81, v62                              // 000000002D64: D1D3003E 04FAA350
	v_max3_f32 v62, v82, v83, v62                              // 000000002D6C: D1D3003E 04FAA752
	v_max3_f32 v62, v84, v85, v62                              // 000000002D74: D1D3003E 04FAAB54
	v_max3_f32 v62, v86, v87, v62                              // 000000002D7C: D1D3003E 04FAAF56
	v_max3_f32 v62, v88, v89, v62                              // 000000002D84: D1D3003E 04FAB358
	v_max3_f32 v62, v90, v91, v62                              // 000000002D8C: D1D3003E 04FAB75A
	v_max3_f32 v62, v92, v93, v62                              // 000000002D94: D1D3003E 04FABB5C
	v_max3_f32 v62, v94, v95, v62                              // 000000002D9C: D1D3003E 04FABF5E
	buffer_load_dwordx4 a[96:99], v37, s[20:23], 0 offen       // 000000002DA4: E05C1000 80856025
	v_cmp_eq_u32_e64 s[40:41], v69, v14                        // 000000002DAC: D0CA0028 00021D45
	s_nop 1                                                    // 000000002DB4: BF800001
	v_mov_b32_dpp v41, v62 row_ror:8 row_mask:0xf bank_mask:0xf// 000000002DB8: 7E5202FA FF01283E
	v_max_f32_e32 v62, v62, v41                                // 000000002DC0: 167C533E
	v_max_f32_e32 v18, v62, v14                                // 000000002DC4: 16241D3E
	v_mul_f32_e32 v67, s64, v18                                // 000000002DC8: 0A862440
	v_fma_f32 v128, v128, s64, -v67                            // 000000002DCC: D1CB0080 850C8180
	v_fma_f32 v129, v129, s64, -v67                            // 000000002DD4: D1CB0081 850C8181
	v_fma_f32 v130, v130, s64, -v67                            // 000000002DDC: D1CB0082 850C8182
	v_fma_f32 v131, v131, s64, -v67                            // 000000002DE4: D1CB0083 850C8183
	v_fma_f32 v132, v132, s64, -v67                            // 000000002DEC: D1CB0084 850C8184
	v_fma_f32 v133, v133, s64, -v67                            // 000000002DF4: D1CB0085 850C8185
	v_fma_f32 v134, v134, s64, -v67                            // 000000002DFC: D1CB0086 850C8186
	v_fma_f32 v135, v135, s64, -v67                            // 000000002E04: D1CB0087 850C8187
	buffer_load_dwordx4 a[100:103], v38, s[20:23], 0 offen     // 000000002E0C: E05C1000 80856426
	v_exp_f32_e32 v128, v128                                   // 000000002E14: 7F004180
	v_exp_f32_e32 v129, v129                                   // 000000002E18: 7F024181
	v_exp_f32_e32 v130, v130                                   // 000000002E1C: 7F044182
	v_exp_f32_e32 v131, v131                                   // 000000002E20: 7F064183
	v_exp_f32_e32 v132, v132                                   // 000000002E24: 7F084184
	v_exp_f32_e32 v133, v133                                   // 000000002E28: 7F0A4185
	v_exp_f32_e32 v134, v134                                   // 000000002E2C: 7F0C4186
	v_exp_f32_e32 v135, v135                                   // 000000002E30: 7F0E4187
	buffer_load_dwordx4 a[104:107], v39, s[20:23], 0 offen     // 000000002E34: E05C1000 80856827
	v_mul_f32_dpp v240, v252, v128 quad_perm:[0,0,0,0] row_mask:0xf bank_mask:0xf// 000000002E3C: 0BE100FA FF0000FC
	v_mul_f32_dpp v241, v252, v129 quad_perm:[1,1,1,1] row_mask:0xf bank_mask:0xf// 000000002E44: 0BE302FA FF0055FC
	v_mul_f32_dpp v242, v252, v130 quad_perm:[2,2,2,2] row_mask:0xf bank_mask:0xf// 000000002E4C: 0BE504FA FF00AAFC
	v_mul_f32_dpp v243, v252, v131 quad_perm:[3,3,3,3] row_mask:0xf bank_mask:0xf// 000000002E54: 0BE706FA FF00FFFC
	v_mul_f32_dpp v244, v253, v132 quad_perm:[0,0,0,0] row_mask:0xf bank_mask:0xf// 000000002E5C: 0BE908FA FF0000FD
	v_mul_f32_dpp v245, v253, v133 quad_perm:[1,1,1,1] row_mask:0xf bank_mask:0xf// 000000002E64: 0BEB0AFA FF0055FD
	v_mul_f32_dpp v246, v253, v134 quad_perm:[2,2,2,2] row_mask:0xf bank_mask:0xf// 000000002E6C: 0BED0CFA FF00AAFD
	v_mul_f32_dpp v247, v253, v135 quad_perm:[3,3,3,3] row_mask:0xf bank_mask:0xf// 000000002E74: 0BEF0EFA FF00FFFD
	v_mov_b32_e32 v62, 0x358637bd                              // 000000002E7C: 7E7C02FF 358637BD
	v_max3_f32 v62, |v240|, |v241|, v62                        // 000000002E84: D1D3033E 04FBE3F0
	v_max3_f32 v62, |v242|, |v243|, v62                        // 000000002E8C: D1D3033E 04FBE7F2
	v_max3_f32 v62, |v244|, |v245|, v62                        // 000000002E94: D1D3033E 04FBEBF4
	v_max3_f32 v62, |v246|, |v247|, v62                        // 000000002E9C: D1D3033E 04FBEFF6
	buffer_load_dwordx4 a[108:111], v40, s[20:23], 0 offen     // 000000002EA4: E05C1000 80856C28
	ds_write_b32 v11, v62 offset:20992                         // 000000002EAC: D81A5200 00003E0B
	v_sub_f32_e32 v63, v14, v18                                // 000000002EB4: 047E250E
	v_cndmask_b32_e64 v63, v63, 0, s[40:41]                    // 000000002EB8: D100003F 00A1013F
	v_mov_b32_e32 v14, v18                                     // 000000002EC0: 7E1C0312
	v_mul_f32_e32 v63, s64, v63                                // 000000002EC4: 0A7E7E40
	v_exp_f32_e32 v63, v63                                     // 000000002EC8: 7E7E413F
	s_waitcnt lgkmcnt(0)                                       // 000000002ECC: BF8CC07F
	s_barrier                                                  // 000000002ED0: BF8A0000
	ds_read_b32 v80, v10 offset:20992                          // 000000002ED4: D86C5200 5000000A
	ds_read_b32 v81, v10 offset:21056                          // 000000002EDC: D86C5240 5100000A
	ds_read_b32 v82, v10 offset:21120                          // 000000002EE4: D86C5280 5200000A
	ds_read_b32 v83, v10 offset:21184                          // 000000002EEC: D86C52C0 5300000A
	ds_read_b32 v84, v10 offset:21248                          // 000000002EF4: D86C5300 5400000A
	ds_read_b32 v85, v10 offset:21312                          // 000000002EFC: D86C5340 5500000A
	ds_read_b32 v86, v10 offset:21376                          // 000000002F04: D86C5380 5600000A
	ds_read_b32 v87, v10 offset:21440                          // 000000002F0C: D86C53C0 5700000A
	ds_read_b32 v88, v10 offset:21504                          // 000000002F14: D86C5400 5800000A
	ds_read_b32 v89, v10 offset:21568                          // 000000002F1C: D86C5440 5900000A
	ds_read_b32 v90, v10 offset:21632                          // 000000002F24: D86C5480 5A00000A
	ds_read_b32 v91, v10 offset:21696                          // 000000002F2C: D86C54C0 5B00000A
	ds_read_b32 v92, v10 offset:21760                          // 000000002F34: D86C5500 5C00000A
	ds_read_b32 v93, v10 offset:21824                          // 000000002F3C: D86C5540 5D00000A
	ds_read_b32 v94, v10 offset:21888                          // 000000002F44: D86C5580 5E00000A
	ds_read_b32 v95, v10 offset:21952                          // 000000002F4C: D86C55C0 5F00000A
	v_mul_f32_e32 v47, v63, v47                                // 000000002F54: 0A5E5F3F
	v_mov_b32_e32 v51, v128                                    // 000000002F58: 7E660380
	v_add_f32_e32 v51, v129, v51                               // 000000002F5C: 02666781
	v_add_f32_e32 v51, v130, v51                               // 000000002F60: 02666782
	v_add_f32_e32 v51, v131, v51                               // 000000002F64: 02666783
	v_add_f32_e32 v51, v132, v51                               // 000000002F68: 02666784
	v_add_f32_e32 v51, v133, v51                               // 000000002F6C: 02666785
	v_add_f32_e32 v51, v134, v51                               // 000000002F70: 02666786
	v_add_f32_e32 v51, v135, v51                               // 000000002F74: 02666787
	v_add_f32_e32 v47, v51, v47                                // 000000002F78: 025E5F33
	s_waitcnt lgkmcnt(0)                                       // 000000002F7C: BF8CC07F
	v_max3_f32 v62, |v80|, |v81|, v62                          // 000000002F80: D1D3033E 04FAA350
	v_max3_f32 v62, |v82|, |v83|, v62                          // 000000002F88: D1D3033E 04FAA752
	v_max3_f32 v62, |v84|, |v85|, v62                          // 000000002F90: D1D3033E 04FAAB54
	v_max3_f32 v62, |v86|, |v87|, v62                          // 000000002F98: D1D3033E 04FAAF56
	v_max3_f32 v62, |v88|, |v89|, v62                          // 000000002FA0: D1D3033E 04FAB358
	v_max3_f32 v62, |v90|, |v91|, v62                          // 000000002FA8: D1D3033E 04FAB75A
	v_max3_f32 v62, |v92|, |v93|, v62                          // 000000002FB0: D1D3033E 04FABB5C
	v_max3_f32 v62, |v94|, |v95|, v62                          // 000000002FB8: D1D3033E 04FABF5E
	s_nop 2                                                    // 000000002FC0: BF800002
	v_mov_b32_dpp v41, v62 row_ror:8 row_mask:0xf bank_mask:0xf// 000000002FC4: 7E5202FA FF01283E
	v_max_f32_e32 v62, v62, v41                                // 000000002FCC: 167C533E
	v_rcp_f32_e32 v62, v62                                     // 000000002FD0: 7E7C453E
	s_nop 1                                                    // 000000002FD4: BF800001
	v_mul_f32_e32 v62, 0x43700000, v62                         // 000000002FD8: 0A7C7CFF 43700000
	v_mul_f32_e32 v128, v62, v240                              // 000000002FE0: 0B01E13E
	v_mul_f32_e32 v129, v62, v241                              // 000000002FE4: 0B03E33E
	v_mul_f32_e32 v130, v62, v242                              // 000000002FE8: 0B05E53E
	v_mul_f32_e32 v131, v62, v243                              // 000000002FEC: 0B07E73E
	v_mul_f32_e32 v132, v62, v244                              // 000000002FF0: 0B09E93E
	v_mul_f32_e32 v133, v62, v245                              // 000000002FF4: 0B0BEB3E
	v_mul_f32_e32 v134, v62, v246                              // 000000002FF8: 0B0DED3E
	v_mul_f32_e32 v135, v62, v247                              // 000000002FFC: 0B0FEF3E
	v_cvt_pk_fp8_f32 v128, v128, v129                          // 000000003000: D2A20080 00030380
	v_cvt_pk_fp8_f32 v128, v130, v131 op_sel:[0,0,1]           // 000000003008: D2A24080 00030782
	v_cvt_pk_fp8_f32 v129, v132, v133                          // 000000003010: D2A20081 00030B84
	v_cvt_pk_fp8_f32 v129, v134, v135 op_sel:[0,0,1]           // 000000003018: D2A24081 00030F86
	ds_write_b32 v13, v128 offset:25088                        // 000000003020: D81A6200 0000800D
	ds_write_b32 v13, v129 offset:26112                        // 000000003028: D81A6600 0000810D
	v_mul_f32_e32 v192, v58, v192                              // 000000003030: 0B81813A
	v_mul_f32_e32 v193, v58, v193                              // 000000003034: 0B83833A
	v_mul_f32_e32 v194, v58, v194                              // 000000003038: 0B85853A
	v_mul_f32_e32 v195, v58, v195                              // 00000000303C: 0B87873A
	v_rcp_f32_e32 v58, v62                                     // 000000003040: 7E74453E
	s_waitcnt lgkmcnt(0)                                       // 000000003044: BF8CC07F
	s_barrier                                                  // 000000003048: BF8A0000
	ds_read_b64 v[128:129], v12 offset:25088                   // 00000000304C: D8EC6200 8000000C
	ds_read_b64 v[130:131], v12 offset:25216                   // 000000003054: D8EC6280 8200000C
	ds_read_b64 v[132:133], v12 offset:26112                   // 00000000305C: D8EC6600 8400000C
	ds_read_b64 v[134:135], v12 offset:26240                   // 000000003064: D8EC6680 8600000C
	v_add_f32_e32 v224, v224, v192                             // 00000000306C: 03C181E0
	v_add_f32_e32 v225, v225, v193                             // 000000003070: 03C383E1
	v_add_f32_e32 v226, v226, v194                             // 000000003074: 03C585E2
	v_add_f32_e32 v227, v227, v195                             // 000000003078: 03C787E3
	s_waitcnt lgkmcnt(3)                                       // 00000000307C: BF8CC37F
	v_mov_b32_dpp v136, v128 row_shl:8 row_mask:0xf bank_mask:0xf bound_ctrl:1// 000000003080: 7F1002FA FF090880
	v_and_b32_e32 v128, v128, v9                               // 000000003088: 27001380
	v_mov_b32_dpp v137, v129 row_shl:8 row_mask:0xf bank_mask:0xf bound_ctrl:1// 00000000308C: 7F1202FA FF090881
	v_and_b32_e32 v129, v129, v9                               // 000000003094: 27021381
	s_waitcnt lgkmcnt(2)                                       // 000000003098: BF8CC27F
	v_mov_b32_dpp v138, v130 row_shl:8 row_mask:0xf bank_mask:0xf bound_ctrl:1// 00000000309C: 7F1402FA FF090882
	v_and_b32_e32 v130, v130, v9                               // 0000000030A4: 27041382
	v_mov_b32_dpp v139, v131 row_shl:8 row_mask:0xf bank_mask:0xf bound_ctrl:1// 0000000030A8: 7F1602FA FF090883
	v_and_b32_e32 v131, v131, v9                               // 0000000030B0: 27061383
	s_waitcnt lgkmcnt(1)                                       // 0000000030B4: BF8CC17F
	v_mov_b32_dpp v140, v132 row_shl:8 row_mask:0xf bank_mask:0xf bound_ctrl:1// 0000000030B8: 7F1802FA FF090884
	v_and_b32_e32 v132, v132, v9                               // 0000000030C0: 27081384
	v_mov_b32_dpp v141, v133 row_shl:8 row_mask:0xf bank_mask:0xf bound_ctrl:1// 0000000030C4: 7F1A02FA FF090885
	v_and_b32_e32 v133, v133, v9                               // 0000000030CC: 270A1385
	s_waitcnt lgkmcnt(0)                                       // 0000000030D0: BF8CC07F
	v_mov_b32_dpp v142, v134 row_shl:8 row_mask:0xf bank_mask:0xf bound_ctrl:1// 0000000030D4: 7F1C02FA FF090886
	v_and_b32_e32 v134, v134, v9                               // 0000000030DC: 270C1386
	v_mov_b32_dpp v143, v135 row_shl:8 row_mask:0xf bank_mask:0xf bound_ctrl:1// 0000000030E0: 7F1E02FA FF090887
	v_and_b32_e32 v135, v135, v9                               // 0000000030E8: 270E1387
	s_waitcnt vmcnt(15)                                        // 0000000030EC: BF8C0F7F
	v_mfma_f32_16x16x32_fp8_fp8 v[192:195], a[64:65], v[128:129], 0// 0000000030F0: D3F300C0 0A030140
	v_mfma_f32_16x16x32_fp8_fp8 v[192:195], a[66:67], v[130:131], v[192:195]// 0000000030F8: D3F300C0 0F030542
	buffer_load_dwordx4 a[112:115], v37, s[20:23], 0 offen offset:1024// 000000003100: E05C1400 80857025
	v_mfma_f32_16x16x32_fp8_fp8 v[192:195], a[68:69], v[132:133], v[192:195]// 000000003108: D3F300C0 0F030944
	v_mfma_f32_16x16x32_fp8_fp8 v[192:195], a[70:71], v[134:135], v[192:195]// 000000003110: D3F300C0 0F030D46
	v_mfma_f32_16x16x32_fp8_fp8 v[192:195], a[72:73], v[136:137], v[192:195]// 000000003118: D3F300C0 0F031148
	v_mfma_f32_16x16x32_fp8_fp8 v[192:195], a[74:75], v[138:139], v[192:195]// 000000003120: D3F300C0 0F03154A
	buffer_load_dwordx4 a[116:119], v38, s[20:23], 0 offen offset:1024// 000000003128: E05C1400 80857426
	v_mfma_f32_16x16x32_fp8_fp8 v[192:195], a[76:77], v[140:141], v[192:195]// 000000003130: D3F300C0 0F03194C
	v_mfma_f32_16x16x32_fp8_fp8 v[192:195], a[78:79], v[142:143], v[192:195]// 000000003138: D3F300C0 0F031D4E
	v_mfma_f32_16x16x32_fp8_fp8 v[196:199], a[80:81], v[128:129], 0// 000000003140: D3F300C4 0A030150
	v_mfma_f32_16x16x32_fp8_fp8 v[196:199], a[82:83], v[130:131], v[196:199]// 000000003148: D3F300C4 0F130552
	buffer_load_dwordx4 a[120:123], v39, s[20:23], 0 offen offset:1024// 000000003150: E05C1400 80857827
	v_mfma_f32_16x16x32_fp8_fp8 v[196:199], a[84:85], v[132:133], v[196:199]// 000000003158: D3F300C4 0F130954
	v_mfma_f32_16x16x32_fp8_fp8 v[196:199], a[86:87], v[134:135], v[196:199]// 000000003160: D3F300C4 0F130D56
	v_mfma_f32_16x16x32_fp8_fp8 v[196:199], a[88:89], v[136:137], v[196:199]// 000000003168: D3F300C4 0F131158
	v_mfma_f32_16x16x32_fp8_fp8 v[196:199], a[90:91], v[138:139], v[196:199]// 000000003170: D3F300C4 0F13155A
	buffer_load_dwordx4 a[124:127], v40, s[20:23], 0 offen offset:1024// 000000003178: E05C1400 80857C28
	v_mfma_f32_16x16x32_fp8_fp8 v[196:199], a[92:93], v[140:141], v[196:199]// 000000003180: D3F300C4 0F13195C
	s_lshr_b32 s57, s70, 4                                     // 000000003188: 8F398446
	s_add_u32 s57, 48, s57                                     // 00000000318C: 803939B0
	v_mfma_f32_16x16x32_fp8_fp8 v[196:199], a[94:95], v[142:143], v[196:199]// 000000003190: D3F300C4 0F131D5E
	s_cmp_ge_u32 s57, s73                                      // 000000003198: BF094939
	s_cselect_b32 s56, 0, s56                                  // 00000000319C: 85383880
	v_add_u32_e32 v1, s56, v1                                  // 0000000031A0: 68020238
	s_addk_i32 s70, 0x100                                      // 0000000031A4: B7460100
	s_cmp_lt_i32 s70, s71                                      // 0000000031A8: BF044746
	s_cbranch_scc0 label_05C7                                  // 0000000031AC: BF8401DB
	s_waitcnt vmcnt(8) lgkmcnt(0)                              // 0000000031B0: BF8C0078
	v_mul_u32_u24_dpp v41, v19, v68 row_newbcast:0 row_mask:0xf bank_mask:0xf// 0000000031B4: 105288FA FF015013
	v_mul_u32_u24_dpp v42, v19, v68 row_newbcast:4 row_mask:0xf bank_mask:0xf// 0000000031BC: 105488FA FF015413
	v_mul_u32_u24_dpp v43, v19, v68 row_newbcast:8 row_mask:0xf bank_mask:0xf// 0000000031C4: 105688FA FF015813
	v_mul_u32_u24_dpp v44, v19, v68 row_newbcast:12 row_mask:0xf bank_mask:0xf// 0000000031CC: 105888FA FF015C13
	v_add_u32_e32 v25, v41, v6                                 // 0000000031D4: 68320D29
	v_add_u32_e32 v26, v42, v6                                 // 0000000031D8: 68340D2A
	v_add_u32_e32 v27, v43, v6                                 // 0000000031DC: 68360D2B
	v_add_u32_e32 v28, v44, v6                                 // 0000000031E0: 68380D2C
	v_mul_u32_u24_dpp v41, v19, v78 quad_perm:[0,0,0,0] row_mask:0xf bank_mask:0xf// 0000000031E4: 10529CFA FF000013
	v_add_u32_e32 v2, v41, v74                                 // 0000000031EC: 68049529
	v_mul_u32_u24_dpp v41, v19, v78 quad_perm:[0,0,0,0] row_mask:0xf bank_mask:0xf// 0000000031F0: 10529CFA FF000013
	v_add_u32_e32 v70, v41, v75                                // 0000000031F8: 688C9729
	v_mfma_f32_16x16x32_fp8_fp8 v[128:131], a[32:33], v[96:97], 0// 0000000031FC: D3F30080 0A02C120
	v_mfma_f32_16x16x32_fp8_fp8 v[128:131], a[34:35], v[98:99], v[128:131]// 000000003204: D3F30080 0E02C522
	buffer_load_dwordx4 a[0:3], v25, s[16:19], 0 offen         // 00000000320C: E05C1000 80840019
	v_mfma_f32_16x16x32_fp8_fp8 v[128:131], a[36:37], v[100:101], v[128:131]// 000000003214: D3F30080 0E02C924
	v_mfma_f32_16x16x32_fp8_fp8 v[128:131], a[38:39], v[102:103], v[128:131]// 00000000321C: D3F30080 0E02CD26
	buffer_load_dword v20, v1, s[24:27], 0 offen               // 000000003224: E0501000 80061401
	v_mfma_f32_16x16x32_fp8_fp8 v[132:135], a[40:41], v[96:97], 0// 00000000322C: D3F30084 0A02C128
	v_mfma_f32_16x16x32_fp8_fp8 v[132:135], a[42:43], v[98:99], v[132:135]// 000000003234: D3F30084 0E12C52A
	buffer_load_dwordx4 a[4:7], v25, s[16:19], 0 offen offset:1024// 00000000323C: E05C1400 80840419
	v_mfma_f32_16x16x32_fp8_fp8 v[132:135], a[44:45], v[100:101], v[132:135]// 000000003244: D3F30084 0E12C92C
	v_mfma_f32_16x16x32_fp8_fp8 v[132:135], a[46:47], v[102:103], v[132:135]// 00000000324C: D3F30084 0E12CD2E
	v_mfma_f32_16x16x32_fp8_fp8 v[136:139], a[48:49], v[96:97], 0// 000000003254: D3F30088 0A02C130
	v_mfma_f32_16x16x32_fp8_fp8 v[136:139], a[50:51], v[98:99], v[136:139]// 00000000325C: D3F30088 0E22C532
	buffer_load_dwordx4 a[8:11], v26, s[16:19], 0 offen        // 000000003264: E05C1000 8084081A
	v_mfma_f32_16x16x32_fp8_fp8 v[136:139], a[52:53], v[100:101], v[136:139]// 00000000326C: D3F30088 0E22C934
	v_mfma_f32_16x16x32_fp8_fp8 v[136:139], a[54:55], v[102:103], v[136:139]// 000000003274: D3F30088 0E22CD36
	v_mfma_f32_16x16x32_fp8_fp8 v[140:143], a[56:57], v[96:97], 0// 00000000327C: D3F3008C 0A02C138
	v_mfma_f32_16x16x32_fp8_fp8 v[140:143], a[58:59], v[98:99], v[140:143]// 000000003284: D3F3008C 0E32C53A
	buffer_load_dwordx4 a[12:15], v26, s[16:19], 0 offen offset:1024// 00000000328C: E05C1400 80840C1A
	v_mfma_f32_16x16x32_fp8_fp8 v[140:143], a[60:61], v[100:101], v[140:143]// 000000003294: D3F3008C 0E32C93C
	v_mfma_f32_16x16x32_fp8_fp8 v[140:143], a[62:63], v[102:103], v[140:143]// 00000000329C: D3F3008C 0E32CD3E
	buffer_load_dword v52, v2, s[32:35], 0 offen               // 0000000032A4: E0501000 80083402
	v_mov_b32_dpp v41, v53 row_shr:4 row_mask:0xf bank_mask:0xf// 0000000032AC: 7E5202FA FF011435
	v_mov_b32_dpp v42, v53 row_shl:4 row_mask:0xf bank_mask:0xf// 0000000032B4: 7E5402FA FF010435
	v_cndmask_b32_e64 v248, v53, v41, s[44:45]                 // 0000000032BC: D10000F8 00B25335
	v_cndmask_b32_e64 v249, v42, v53, s[44:45]                 // 0000000032C4: D10000F9 00B26B2A
	v_mov_b32_dpp v41, v73 row_shr:4 row_mask:0xf bank_mask:0xf// 0000000032CC: 7E5202FA FF011449
	v_mov_b32_dpp v42, v73 row_shl:4 row_mask:0xf bank_mask:0xf// 0000000032D4: 7E5402FA FF010449
	v_cndmask_b32_e64 v252, v73, v41, s[44:45]                 // 0000000032DC: D10000FC 00B25349
	v_cndmask_b32_e64 v253, v42, v73, s[44:45]                 // 0000000032E4: D10000FD 00B2932A
	v_or_b32_dpp v128, v136, v128 row_shr:8 row_mask:0xf bank_mask:0xf bound_ctrl:1// 0000000032EC: 290100FA FF091888
	v_or_b32_dpp v129, v137, v129 row_shr:8 row_mask:0xf bank_mask:0xf bound_ctrl:1// 0000000032F4: 290302FA FF091889
	v_or_b32_dpp v130, v138, v130 row_shr:8 row_mask:0xf bank_mask:0xf bound_ctrl:1// 0000000032FC: 290504FA FF09188A
	v_or_b32_dpp v131, v139, v131 row_shr:8 row_mask:0xf bank_mask:0xf bound_ctrl:1// 000000003304: 290706FA FF09188B
	v_or_b32_dpp v132, v140, v132 row_shr:8 row_mask:0xf bank_mask:0xf bound_ctrl:1// 00000000330C: 290908FA FF09188C
	v_or_b32_dpp v133, v141, v133 row_shr:8 row_mask:0xf bank_mask:0xf bound_ctrl:1// 000000003314: 290B0AFA FF09188D
	v_or_b32_dpp v134, v142, v134 row_shr:8 row_mask:0xf bank_mask:0xf bound_ctrl:1// 00000000331C: 290D0CFA FF09188E
	v_or_b32_dpp v135, v143, v135 row_shr:8 row_mask:0xf bank_mask:0xf bound_ctrl:1// 000000003324: 290F0EFA FF09188F
	buffer_load_dword v72, v70, s[36:39], 0 offen              // 00000000332C: E0501000 80094846
	v_mul_f32_e32 v128, v54, v128                              // 000000003334: 0B010136
	v_mul_f32_e32 v129, v54, v129                              // 000000003338: 0B030336
	v_mul_f32_e32 v130, v54, v130                              // 00000000333C: 0B050536
	v_mul_f32_e32 v131, v54, v131                              // 000000003340: 0B070736
	v_mul_f32_e32 v132, v54, v132                              // 000000003344: 0B090936
	v_mul_f32_e32 v133, v54, v133                              // 000000003348: 0B0B0B36
	v_mul_f32_e32 v134, v54, v134                              // 00000000334C: 0B0D0D36
	v_mul_f32_e32 v135, v54, v135                              // 000000003350: 0B0F0F36
	buffer_load_dwordx4 a[16:19], v27, s[16:19], 0 offen       // 000000003354: E05C1000 8084101B
	v_mul_f32_dpp v128, v248, v128 quad_perm:[0,0,0,0] row_mask:0xf bank_mask:0xf// 00000000335C: 0B0100FA FF0000F8
	v_mul_f32_dpp v129, v248, v129 quad_perm:[1,1,1,1] row_mask:0xf bank_mask:0xf// 000000003364: 0B0302FA FF0055F8
	v_mul_f32_dpp v130, v248, v130 quad_perm:[2,2,2,2] row_mask:0xf bank_mask:0xf// 00000000336C: 0B0504FA FF00AAF8
	v_mul_f32_dpp v131, v248, v131 quad_perm:[3,3,3,3] row_mask:0xf bank_mask:0xf// 000000003374: 0B0706FA FF00FFF8
	v_mul_f32_dpp v132, v249, v132 quad_perm:[0,0,0,0] row_mask:0xf bank_mask:0xf// 00000000337C: 0B0908FA FF0000F9
	v_mul_f32_dpp v133, v249, v133 quad_perm:[1,1,1,1] row_mask:0xf bank_mask:0xf// 000000003384: 0B0B0AFA FF0055F9
	v_mul_f32_dpp v134, v249, v134 quad_perm:[2,2,2,2] row_mask:0xf bank_mask:0xf// 00000000338C: 0B0D0CFA FF00AAF9
	v_mul_f32_dpp v135, v249, v135 quad_perm:[3,3,3,3] row_mask:0xf bank_mask:0xf// 000000003394: 0B0F0EFA FF00FFF9
	buffer_load_dwordx4 a[20:23], v27, s[16:19], 0 offen offset:1024// 00000000339C: E05C1400 8084141B
	v_mov_b32_e32 v62, v128                                    // 0000000033A4: 7E7C0380
	v_max3_f32 v62, v128, v129, v62                            // 0000000033A8: D1D3003E 04FB0380
	v_max3_f32 v62, v130, v131, v62                            // 0000000033B0: D1D3003E 04FB0782
	v_max3_f32 v62, v132, v133, v62                            // 0000000033B8: D1D3003E 04FB0B84
	v_max3_f32 v62, v134, v135, v62                            // 0000000033C0: D1D3003E 04FB0F86
	ds_write_b32 v11, v62 offset:16896                         // 0000000033C8: D81A4200 00003E0B
	buffer_load_dwordx4 a[24:27], v28, s[16:19], 0 offen       // 0000000033D0: E05C1000 8084181C
	v_mul_u32_u24_dpp v41, v19, v68 row_newbcast:1 row_mask:0xf bank_mask:0xf// 0000000033D8: 105288FA FF015113
	v_mul_u32_u24_dpp v42, v19, v68 row_newbcast:5 row_mask:0xf bank_mask:0xf// 0000000033E0: 105488FA FF015513
	v_mul_u32_u24_dpp v43, v19, v68 row_newbcast:9 row_mask:0xf bank_mask:0xf// 0000000033E8: 105688FA FF015913
	v_mul_u32_u24_dpp v44, v19, v68 row_newbcast:13 row_mask:0xf bank_mask:0xf// 0000000033F0: 105888FA FF015D13
	v_add_u32_e32 v33, v41, v7                                 // 0000000033F8: 68420F29
	v_add_u32_e32 v34, v42, v7                                 // 0000000033FC: 68440F2A
	v_add_u32_e32 v35, v43, v7                                 // 000000003400: 68460F2B
	v_add_u32_e32 v36, v44, v7                                 // 000000003404: 68480F2C
	s_waitcnt lgkmcnt(0)                                       // 000000003408: BF8CC07F
	s_barrier                                                  // 00000000340C: BF8A0000
	ds_read_b32 v80, v10 offset:16896                          // 000000003410: D86C4200 5000000A
	ds_read_b32 v81, v10 offset:16960                          // 000000003418: D86C4240 5100000A
	ds_read_b32 v82, v10 offset:17024                          // 000000003420: D86C4280 5200000A
	ds_read_b32 v83, v10 offset:17088                          // 000000003428: D86C42C0 5300000A
	ds_read_b32 v84, v10 offset:17152                          // 000000003430: D86C4300 5400000A
	ds_read_b32 v85, v10 offset:17216                          // 000000003438: D86C4340 5500000A
	ds_read_b32 v86, v10 offset:17280                          // 000000003440: D86C4380 5600000A
	ds_read_b32 v87, v10 offset:17344                          // 000000003448: D86C43C0 5700000A
	ds_read_b32 v88, v10 offset:17408                          // 000000003450: D86C4400 5800000A
	ds_read_b32 v89, v10 offset:17472                          // 000000003458: D86C4440 5900000A
	ds_read_b32 v90, v10 offset:17536                          // 000000003460: D86C4480 5A00000A
	ds_read_b32 v91, v10 offset:17600                          // 000000003468: D86C44C0 5B00000A
	ds_read_b32 v92, v10 offset:17664                          // 000000003470: D86C4500 5C00000A
	ds_read_b32 v93, v10 offset:17728                          // 000000003478: D86C4540 5D00000A
	ds_read_b32 v94, v10 offset:17792                          // 000000003480: D86C4580 5E00000A
	ds_read_b32 v95, v10 offset:17856                          // 000000003488: D86C45C0 5F00000A
	buffer_load_dwordx4 a[28:31], v28, s[16:19], 0 offen offset:1024// 000000003490: E05C1400 80841C1C
	v_mul_f32_e32 v224, v63, v224                              // 000000003498: 0BC1C13F
	v_mul_f32_e32 v225, v63, v225                              // 00000000349C: 0BC3C33F
	v_mul_f32_e32 v226, v63, v226                              // 0000000034A0: 0BC5C53F
	v_mul_f32_e32 v227, v63, v227                              // 0000000034A4: 0BC7C73F
	v_or_b32_dpp v192, v196, v192 row_shr:8 row_mask:0xf bank_mask:0xf bound_ctrl:1// 0000000034A8: 298180FA FF0918C4
	v_or_b32_dpp v193, v197, v193 row_shr:8 row_mask:0xf bank_mask:0xf bound_ctrl:1// 0000000034B0: 298382FA FF0918C5
	v_or_b32_dpp v194, v198, v194 row_shr:8 row_mask:0xf bank_mask:0xf bound_ctrl:1// 0000000034B8: 298584FA FF0918C6
	v_or_b32_dpp v195, v199, v195 row_shr:8 row_mask:0xf bank_mask:0xf bound_ctrl:1// 0000000034C0: 298786FA FF0918C7
	s_waitcnt lgkmcnt(0)                                       // 0000000034C8: BF8CC07F
	v_max3_f32 v62, v80, v81, v62                              // 0000000034CC: D1D3003E 04FAA350
	v_max3_f32 v62, v82, v83, v62                              // 0000000034D4: D1D3003E 04FAA752
	v_max3_f32 v62, v84, v85, v62                              // 0000000034DC: D1D3003E 04FAAB54
	v_max3_f32 v62, v86, v87, v62                              // 0000000034E4: D1D3003E 04FAAF56
	v_max3_f32 v62, v88, v89, v62                              // 0000000034EC: D1D3003E 04FAB358
	v_max3_f32 v62, v90, v91, v62                              // 0000000034F4: D1D3003E 04FAB75A
	v_max3_f32 v62, v92, v93, v62                              // 0000000034FC: D1D3003E 04FABB5C
	v_max3_f32 v62, v94, v95, v62                              // 000000003504: D1D3003E 04FABF5E
	buffer_load_dwordx4 a[64:67], v33, s[20:23], 0 offen       // 00000000350C: E05C1000 80854021
	v_cmp_eq_u32_e64 s[40:41], v69, v14                        // 000000003514: D0CA0028 00021D45
	s_nop 1                                                    // 00000000351C: BF800001
	v_mov_b32_dpp v41, v62 row_ror:8 row_mask:0xf bank_mask:0xf// 000000003520: 7E5202FA FF01283E
	v_max_f32_e32 v62, v62, v41                                // 000000003528: 167C533E
	v_max_f32_e32 v18, v62, v14                                // 00000000352C: 16241D3E
	v_mul_f32_e32 v67, s64, v18                                // 000000003530: 0A862440
	v_fma_f32 v128, v128, s64, -v67                            // 000000003534: D1CB0080 850C8180
	v_fma_f32 v129, v129, s64, -v67                            // 00000000353C: D1CB0081 850C8181
	v_fma_f32 v130, v130, s64, -v67                            // 000000003544: D1CB0082 850C8182
	v_fma_f32 v131, v131, s64, -v67                            // 00000000354C: D1CB0083 850C8183
	v_fma_f32 v132, v132, s64, -v67                            // 000000003554: D1CB0084 850C8184
	v_fma_f32 v133, v133, s64, -v67                            // 00000000355C: D1CB0085 850C8185
	v_fma_f32 v134, v134, s64, -v67                            // 000000003564: D1CB0086 850C8186
	v_fma_f32 v135, v135, s64, -v67                            // 00000000356C: D1CB0087 850C8187
	buffer_load_dwordx4 a[68:71], v34, s[20:23], 0 offen       // 000000003574: E05C1000 80854422
	v_exp_f32_e32 v128, v128                                   // 00000000357C: 7F004180
	v_exp_f32_e32 v129, v129                                   // 000000003580: 7F024181
	v_exp_f32_e32 v130, v130                                   // 000000003584: 7F044182
	v_exp_f32_e32 v131, v131                                   // 000000003588: 7F064183
	v_exp_f32_e32 v132, v132                                   // 00000000358C: 7F084184
	v_exp_f32_e32 v133, v133                                   // 000000003590: 7F0A4185
	v_exp_f32_e32 v134, v134                                   // 000000003594: 7F0C4186
	v_exp_f32_e32 v135, v135                                   // 000000003598: 7F0E4187
	buffer_load_dwordx4 a[72:75], v35, s[20:23], 0 offen       // 00000000359C: E05C1000 80854823
	v_mul_f32_dpp v240, v252, v128 quad_perm:[0,0,0,0] row_mask:0xf bank_mask:0xf// 0000000035A4: 0BE100FA FF0000FC
	v_mul_f32_dpp v241, v252, v129 quad_perm:[1,1,1,1] row_mask:0xf bank_mask:0xf// 0000000035AC: 0BE302FA FF0055FC
	v_mul_f32_dpp v242, v252, v130 quad_perm:[2,2,2,2] row_mask:0xf bank_mask:0xf// 0000000035B4: 0BE504FA FF00AAFC
	v_mul_f32_dpp v243, v252, v131 quad_perm:[3,3,3,3] row_mask:0xf bank_mask:0xf// 0000000035BC: 0BE706FA FF00FFFC
	v_mul_f32_dpp v244, v253, v132 quad_perm:[0,0,0,0] row_mask:0xf bank_mask:0xf// 0000000035C4: 0BE908FA FF0000FD
	v_mul_f32_dpp v245, v253, v133 quad_perm:[1,1,1,1] row_mask:0xf bank_mask:0xf// 0000000035CC: 0BEB0AFA FF0055FD
	v_mul_f32_dpp v246, v253, v134 quad_perm:[2,2,2,2] row_mask:0xf bank_mask:0xf// 0000000035D4: 0BED0CFA FF00AAFD
	v_mul_f32_dpp v247, v253, v135 quad_perm:[3,3,3,3] row_mask:0xf bank_mask:0xf// 0000000035DC: 0BEF0EFA FF00FFFD
	v_mov_b32_e32 v62, 0x358637bd                              // 0000000035E4: 7E7C02FF 358637BD
	v_max3_f32 v62, |v240|, |v241|, v62                        // 0000000035EC: D1D3033E 04FBE3F0
	v_max3_f32 v62, |v242|, |v243|, v62                        // 0000000035F4: D1D3033E 04FBE7F2
	v_max3_f32 v62, |v244|, |v245|, v62                        // 0000000035FC: D1D3033E 04FBEBF4
	v_max3_f32 v62, |v246|, |v247|, v62                        // 000000003604: D1D3033E 04FBEFF6
	buffer_load_dwordx4 a[76:79], v36, s[20:23], 0 offen       // 00000000360C: E05C1000 80854C24
	ds_write_b32 v11, v62 offset:20992                         // 000000003614: D81A5200 00003E0B
	v_sub_f32_e32 v63, v14, v18                                // 00000000361C: 047E250E
	v_cndmask_b32_e64 v63, v63, 0, s[40:41]                    // 000000003620: D100003F 00A1013F
	v_mov_b32_e32 v14, v18                                     // 000000003628: 7E1C0312
	v_mul_f32_e32 v63, s64, v63                                // 00000000362C: 0A7E7E40
	v_exp_f32_e32 v63, v63                                     // 000000003630: 7E7E413F
	s_waitcnt lgkmcnt(0)                                       // 000000003634: BF8CC07F
	s_barrier                                                  // 000000003638: BF8A0000
	ds_read_b32 v80, v10 offset:20992                          // 00000000363C: D86C5200 5000000A
	ds_read_b32 v81, v10 offset:21056                          // 000000003644: D86C5240 5100000A
	ds_read_b32 v82, v10 offset:21120                          // 00000000364C: D86C5280 5200000A
	ds_read_b32 v83, v10 offset:21184                          // 000000003654: D86C52C0 5300000A
	ds_read_b32 v84, v10 offset:21248                          // 00000000365C: D86C5300 5400000A
	ds_read_b32 v85, v10 offset:21312                          // 000000003664: D86C5340 5500000A
	ds_read_b32 v86, v10 offset:21376                          // 00000000366C: D86C5380 5600000A
	ds_read_b32 v87, v10 offset:21440                          // 000000003674: D86C53C0 5700000A
	ds_read_b32 v88, v10 offset:21504                          // 00000000367C: D86C5400 5800000A
	ds_read_b32 v89, v10 offset:21568                          // 000000003684: D86C5440 5900000A
	ds_read_b32 v90, v10 offset:21632                          // 00000000368C: D86C5480 5A00000A
	ds_read_b32 v91, v10 offset:21696                          // 000000003694: D86C54C0 5B00000A
	ds_read_b32 v92, v10 offset:21760                          // 00000000369C: D86C5500 5C00000A
	ds_read_b32 v93, v10 offset:21824                          // 0000000036A4: D86C5540 5D00000A
	ds_read_b32 v94, v10 offset:21888                          // 0000000036AC: D86C5580 5E00000A
	ds_read_b32 v95, v10 offset:21952                          // 0000000036B4: D86C55C0 5F00000A
	v_mul_f32_e32 v47, v63, v47                                // 0000000036BC: 0A5E5F3F
	v_mov_b32_e32 v51, v128                                    // 0000000036C0: 7E660380
	v_add_f32_e32 v51, v129, v51                               // 0000000036C4: 02666781
	v_add_f32_e32 v51, v130, v51                               // 0000000036C8: 02666782
	v_add_f32_e32 v51, v131, v51                               // 0000000036CC: 02666783
	v_add_f32_e32 v51, v132, v51                               // 0000000036D0: 02666784
	v_add_f32_e32 v51, v133, v51                               // 0000000036D4: 02666785
	v_add_f32_e32 v51, v134, v51                               // 0000000036D8: 02666786
	v_add_f32_e32 v51, v135, v51                               // 0000000036DC: 02666787
	v_add_f32_e32 v47, v51, v47                                // 0000000036E0: 025E5F33
	s_waitcnt lgkmcnt(0)                                       // 0000000036E4: BF8CC07F
	v_max3_f32 v62, |v80|, |v81|, v62                          // 0000000036E8: D1D3033E 04FAA350
	v_max3_f32 v62, |v82|, |v83|, v62                          // 0000000036F0: D1D3033E 04FAA752
	v_max3_f32 v62, |v84|, |v85|, v62                          // 0000000036F8: D1D3033E 04FAAB54
	v_max3_f32 v62, |v86|, |v87|, v62                          // 000000003700: D1D3033E 04FAAF56
	v_max3_f32 v62, |v88|, |v89|, v62                          // 000000003708: D1D3033E 04FAB358
	v_max3_f32 v62, |v90|, |v91|, v62                          // 000000003710: D1D3033E 04FAB75A
	v_max3_f32 v62, |v92|, |v93|, v62                          // 000000003718: D1D3033E 04FABB5C
	v_max3_f32 v62, |v94|, |v95|, v62                          // 000000003720: D1D3033E 04FABF5E
	s_nop 2                                                    // 000000003728: BF800002
	v_mov_b32_dpp v41, v62 row_ror:8 row_mask:0xf bank_mask:0xf// 00000000372C: 7E5202FA FF01283E
	v_max_f32_e32 v62, v62, v41                                // 000000003734: 167C533E
	v_rcp_f32_e32 v62, v62                                     // 000000003738: 7E7C453E
	s_nop 1                                                    // 00000000373C: BF800001
	v_mul_f32_e32 v62, 0x43700000, v62                         // 000000003740: 0A7C7CFF 43700000
	v_mul_f32_e32 v128, v62, v240                              // 000000003748: 0B01E13E
	v_mul_f32_e32 v129, v62, v241                              // 00000000374C: 0B03E33E
	v_mul_f32_e32 v130, v62, v242                              // 000000003750: 0B05E53E
	v_mul_f32_e32 v131, v62, v243                              // 000000003754: 0B07E73E
	v_mul_f32_e32 v132, v62, v244                              // 000000003758: 0B09E93E
	v_mul_f32_e32 v133, v62, v245                              // 00000000375C: 0B0BEB3E
	v_mul_f32_e32 v134, v62, v246                              // 000000003760: 0B0DED3E
	v_mul_f32_e32 v135, v62, v247                              // 000000003764: 0B0FEF3E
	v_cvt_pk_fp8_f32 v128, v128, v129                          // 000000003768: D2A20080 00030380
	v_cvt_pk_fp8_f32 v128, v130, v131 op_sel:[0,0,1]           // 000000003770: D2A24080 00030782
	v_cvt_pk_fp8_f32 v129, v132, v133                          // 000000003778: D2A20081 00030B84
	v_cvt_pk_fp8_f32 v129, v134, v135 op_sel:[0,0,1]           // 000000003780: D2A24081 00030F86
	ds_write_b32 v13, v128 offset:25088                        // 000000003788: D81A6200 0000800D
	ds_write_b32 v13, v129 offset:26112                        // 000000003790: D81A6600 0000810D
	v_mul_f32_e32 v192, v58, v192                              // 000000003798: 0B81813A
	v_mul_f32_e32 v193, v58, v193                              // 00000000379C: 0B83833A
	v_mul_f32_e32 v194, v58, v194                              // 0000000037A0: 0B85853A
	v_mul_f32_e32 v195, v58, v195                              // 0000000037A4: 0B87873A
	v_rcp_f32_e32 v58, v62                                     // 0000000037A8: 7E74453E
	s_waitcnt lgkmcnt(0)                                       // 0000000037AC: BF8CC07F
	s_barrier                                                  // 0000000037B0: BF8A0000
	ds_read_b64 v[128:129], v12 offset:25088                   // 0000000037B4: D8EC6200 8000000C
	ds_read_b64 v[130:131], v12 offset:25216                   // 0000000037BC: D8EC6280 8200000C
	ds_read_b64 v[132:133], v12 offset:26112                   // 0000000037C4: D8EC6600 8400000C
	ds_read_b64 v[134:135], v12 offset:26240                   // 0000000037CC: D8EC6680 8600000C
	v_add_f32_e32 v224, v224, v192                             // 0000000037D4: 03C181E0
	v_add_f32_e32 v225, v225, v193                             // 0000000037D8: 03C383E1
	v_add_f32_e32 v226, v226, v194                             // 0000000037DC: 03C585E2
	v_add_f32_e32 v227, v227, v195                             // 0000000037E0: 03C787E3
	s_waitcnt lgkmcnt(3)                                       // 0000000037E4: BF8CC37F
	v_mov_b32_dpp v136, v128 row_shl:8 row_mask:0xf bank_mask:0xf bound_ctrl:1// 0000000037E8: 7F1002FA FF090880
	v_and_b32_e32 v128, v128, v9                               // 0000000037F0: 27001380
	v_mov_b32_dpp v137, v129 row_shl:8 row_mask:0xf bank_mask:0xf bound_ctrl:1// 0000000037F4: 7F1202FA FF090881
	v_and_b32_e32 v129, v129, v9                               // 0000000037FC: 27021381
	s_waitcnt lgkmcnt(2)                                       // 000000003800: BF8CC27F
	v_mov_b32_dpp v138, v130 row_shl:8 row_mask:0xf bank_mask:0xf bound_ctrl:1// 000000003804: 7F1402FA FF090882
	v_and_b32_e32 v130, v130, v9                               // 00000000380C: 27041382
	v_mov_b32_dpp v139, v131 row_shl:8 row_mask:0xf bank_mask:0xf bound_ctrl:1// 000000003810: 7F1602FA FF090883
	v_and_b32_e32 v131, v131, v9                               // 000000003818: 27061383
	s_waitcnt lgkmcnt(1)                                       // 00000000381C: BF8CC17F
	v_mov_b32_dpp v140, v132 row_shl:8 row_mask:0xf bank_mask:0xf bound_ctrl:1// 000000003820: 7F1802FA FF090884
	v_and_b32_e32 v132, v132, v9                               // 000000003828: 27081384
	v_mov_b32_dpp v141, v133 row_shl:8 row_mask:0xf bank_mask:0xf bound_ctrl:1// 00000000382C: 7F1A02FA FF090885
	v_and_b32_e32 v133, v133, v9                               // 000000003834: 270A1385
	s_waitcnt lgkmcnt(0)                                       // 000000003838: BF8CC07F
	v_mov_b32_dpp v142, v134 row_shl:8 row_mask:0xf bank_mask:0xf bound_ctrl:1// 00000000383C: 7F1C02FA FF090886
	v_and_b32_e32 v134, v134, v9                               // 000000003844: 270C1386
	v_mov_b32_dpp v143, v135 row_shl:8 row_mask:0xf bank_mask:0xf bound_ctrl:1// 000000003848: 7F1E02FA FF090887
	v_and_b32_e32 v135, v135, v9                               // 000000003850: 270E1387
	s_waitcnt vmcnt(15)                                        // 000000003854: BF8C0F7F
	v_mfma_f32_16x16x32_fp8_fp8 v[192:195], a[96:97], v[128:129], 0// 000000003858: D3F300C0 0A030160
	v_mfma_f32_16x16x32_fp8_fp8 v[192:195], a[98:99], v[130:131], v[192:195]// 000000003860: D3F300C0 0F030562
	buffer_load_dwordx4 a[80:83], v33, s[20:23], 0 offen offset:1024// 000000003868: E05C1400 80855021
	v_mfma_f32_16x16x32_fp8_fp8 v[192:195], a[100:101], v[132:133], v[192:195]// 000000003870: D3F300C0 0F030964
	v_mfma_f32_16x16x32_fp8_fp8 v[192:195], a[102:103], v[134:135], v[192:195]// 000000003878: D3F300C0 0F030D66
	v_mfma_f32_16x16x32_fp8_fp8 v[192:195], a[104:105], v[136:137], v[192:195]// 000000003880: D3F300C0 0F031168
	v_mfma_f32_16x16x32_fp8_fp8 v[192:195], a[106:107], v[138:139], v[192:195]// 000000003888: D3F300C0 0F03156A
	buffer_load_dwordx4 a[84:87], v34, s[20:23], 0 offen offset:1024// 000000003890: E05C1400 80855422
	v_mfma_f32_16x16x32_fp8_fp8 v[192:195], a[108:109], v[140:141], v[192:195]// 000000003898: D3F300C0 0F03196C
	v_mfma_f32_16x16x32_fp8_fp8 v[192:195], a[110:111], v[142:143], v[192:195]// 0000000038A0: D3F300C0 0F031D6E
	v_mfma_f32_16x16x32_fp8_fp8 v[196:199], a[112:113], v[128:129], 0// 0000000038A8: D3F300C4 0A030170
	v_mfma_f32_16x16x32_fp8_fp8 v[196:199], a[114:115], v[130:131], v[196:199]// 0000000038B0: D3F300C4 0F130572
	buffer_load_dwordx4 a[88:91], v35, s[20:23], 0 offen offset:1024// 0000000038B8: E05C1400 80855823
	v_mfma_f32_16x16x32_fp8_fp8 v[196:199], a[116:117], v[132:133], v[196:199]// 0000000038C0: D3F300C4 0F130974
	v_mfma_f32_16x16x32_fp8_fp8 v[196:199], a[118:119], v[134:135], v[196:199]// 0000000038C8: D3F300C4 0F130D76
	v_mfma_f32_16x16x32_fp8_fp8 v[196:199], a[120:121], v[136:137], v[196:199]// 0000000038D0: D3F300C4 0F131178
	v_mfma_f32_16x16x32_fp8_fp8 v[196:199], a[122:123], v[138:139], v[196:199]// 0000000038D8: D3F300C4 0F13157A
	buffer_load_dwordx4 a[92:95], v36, s[20:23], 0 offen offset:1024// 0000000038E0: E05C1400 80855C24
	v_mfma_f32_16x16x32_fp8_fp8 v[196:199], a[124:125], v[140:141], v[196:199]// 0000000038E8: D3F300C4 0F13197C
	s_lshr_b32 s57, s70, 4                                     // 0000000038F0: 8F398446
	s_add_u32 s57, 48, s57                                     // 0000000038F4: 803939B0
	v_mfma_f32_16x16x32_fp8_fp8 v[196:199], a[126:127], v[142:143], v[196:199]// 0000000038F8: D3F300C4 0F131D7E
	s_cmp_ge_u32 s57, s73                                      // 000000003900: BF094939
	s_cselect_b32 s56, 0, s56                                  // 000000003904: 85383880
	v_add_u32_e32 v1, s56, v1                                  // 000000003908: 68020238
	s_addk_i32 s70, 0x100                                      // 00000000390C: B7460100
	s_cmp_lt_i32 s70, s71                                      // 000000003910: BF044746
	s_cbranch_scc0 label_05C7                                  // 000000003914: BF840001
	s_branch label_0212                                        // 000000003918: BF82FC4B

000000000000391c <label_05C7>:
	s_nop 0                                                    // 00000000391C: BF800000
	s_nop 0                                                    // 000000003920: BF800000
	s_branch label_097F                                        // 000000003924: BF8203B5

0000000000003928 <label_05CA>:
	s_waitcnt vmcnt(8) lgkmcnt(0)                              // 000000003928: BF8C0078
	v_mul_u32_u24_dpp v41, v20, v68 row_newbcast:0 row_mask:0xf bank_mask:0xf// 00000000392C: 105288FA FF015014
	v_mul_u32_u24_dpp v42, v20, v68 row_newbcast:4 row_mask:0xf bank_mask:0xf// 000000003934: 105488FA FF015414
	v_mul_u32_u24_dpp v43, v20, v68 row_newbcast:8 row_mask:0xf bank_mask:0xf// 00000000393C: 105688FA FF015814
	v_mul_u32_u24_dpp v44, v20, v68 row_newbcast:12 row_mask:0xf bank_mask:0xf// 000000003944: 105888FA FF015C14
	v_add_u32_e32 v29, v41, v6                                 // 00000000394C: 683A0D29
	v_add_u32_e32 v30, v42, v6                                 // 000000003950: 683C0D2A
	v_add_u32_e32 v31, v43, v6                                 // 000000003954: 683E0D2B
	v_add_u32_e32 v32, v44, v6                                 // 000000003958: 68400D2C
	v_mul_u32_u24_dpp v41, v20, v78 quad_perm:[0,0,0,0] row_mask:0xf bank_mask:0xf// 00000000395C: 10529CFA FF000014
	v_add_u32_e32 v3, v41, v74                                 // 000000003964: 68069529
	v_mul_u32_u24_dpp v41, v20, v78 quad_perm:[0,0,0,0] row_mask:0xf bank_mask:0xf// 000000003968: 10529CFA FF000014
	v_add_u32_e32 v71, v41, v75                                // 000000003970: 688E9729
	v_mfma_f32_16x16x32_fp8_fp8 v[128:131], a[0:1], v[96:97], 0// 000000003974: D3F30080 0A02C100
	buffer_load_dwordx4 a[32:35], v29, s[16:19], 0 offen       // 00000000397C: E05C1000 8084201D
	v_mfma_f32_16x16x32_fp8_fp8 v[128:131], a[2:3], v[98:99], v[128:131]// 000000003984: D3F30080 0E02C502
	v_mfma_f32_16x16x32_fp8_fp8 v[128:131], a[4:5], v[100:101], v[128:131]// 00000000398C: D3F30080 0E02C904
	buffer_load_dword v19, v1, s[24:27], 0 offen               // 000000003994: E0501000 80061301
	v_mfma_f32_16x16x32_fp8_fp8 v[128:131], a[6:7], v[102:103], v[128:131]// 00000000399C: D3F30080 0E02CD06
	v_mfma_f32_16x16x32_fp8_fp8 v[132:135], a[8:9], v[96:97], 0// 0000000039A4: D3F30084 0A02C108
	buffer_load_dwordx4 a[36:39], v29, s[16:19], 0 offen offset:1024// 0000000039AC: E05C1400 8084241D
	v_mfma_f32_16x16x32_fp8_fp8 v[132:135], a[10:11], v[98:99], v[132:135]// 0000000039B4: D3F30084 0E12C50A
	v_mfma_f32_16x16x32_fp8_fp8 v[132:135], a[12:13], v[100:101], v[132:135]// 0000000039BC: D3F30084 0E12C90C
	v_mfma_f32_16x16x32_fp8_fp8 v[132:135], a[14:15], v[102:103], v[132:135]// 0000000039C4: D3F30084 0E12CD0E
	v_mfma_f32_16x16x32_fp8_fp8 v[136:139], a[16:17], v[96:97], 0// 0000000039CC: D3F30088 0A02C110
	buffer_load_dwordx4 a[40:43], v30, s[16:19], 0 offen       // 0000000039D4: E05C1000 8084281E
	v_mfma_f32_16x16x32_fp8_fp8 v[136:139], a[18:19], v[98:99], v[136:139]// 0000000039DC: D3F30088 0E22C512
	v_mfma_f32_16x16x32_fp8_fp8 v[136:139], a[20:21], v[100:101], v[136:139]// 0000000039E4: D3F30088 0E22C914
	v_mfma_f32_16x16x32_fp8_fp8 v[136:139], a[22:23], v[102:103], v[136:139]// 0000000039EC: D3F30088 0E22CD16
	v_mfma_f32_16x16x32_fp8_fp8 v[140:143], a[24:25], v[96:97], 0// 0000000039F4: D3F3008C 0A02C118
	buffer_load_dwordx4 a[44:47], v30, s[16:19], 0 offen offset:1024// 0000000039FC: E05C1400 80842C1E
	v_mfma_f32_16x16x32_fp8_fp8 v[140:143], a[26:27], v[98:99], v[140:143]// 000000003A04: D3F3008C 0E32C51A
	v_mfma_f32_16x16x32_fp8_fp8 v[140:143], a[28:29], v[100:101], v[140:143]// 000000003A0C: D3F3008C 0E32C91C
	v_mfma_f32_16x16x32_fp8_fp8 v[140:143], a[30:31], v[102:103], v[140:143]// 000000003A14: D3F3008C 0E32CD1E
	buffer_load_dword v53, v3, s[32:35], 0 offen               // 000000003A1C: E0501000 80083503
	v_mov_b32_dpp v41, v52 row_shr:4 row_mask:0xf bank_mask:0xf// 000000003A24: 7E5202FA FF011434
	v_mov_b32_dpp v42, v52 row_shl:4 row_mask:0xf bank_mask:0xf// 000000003A2C: 7E5402FA FF010434
	v_cndmask_b32_e64 v248, v52, v41, s[44:45]                 // 000000003A34: D10000F8 00B25334
	v_cndmask_b32_e64 v249, v42, v52, s[44:45]                 // 000000003A3C: D10000F9 00B2692A
	v_mov_b32_dpp v41, v72 row_shr:4 row_mask:0xf bank_mask:0xf// 000000003A44: 7E5202FA FF011448
	v_mov_b32_dpp v42, v72 row_shl:4 row_mask:0xf bank_mask:0xf// 000000003A4C: 7E5402FA FF010448
	v_cndmask_b32_e64 v252, v72, v41, s[44:45]                 // 000000003A54: D10000FC 00B25348
	v_cndmask_b32_e64 v253, v42, v72, s[44:45]                 // 000000003A5C: D10000FD 00B2912A
	v_or_b32_dpp v128, v136, v128 row_shr:8 row_mask:0xf bank_mask:0xf bound_ctrl:1// 000000003A64: 290100FA FF091888
	v_or_b32_dpp v129, v137, v129 row_shr:8 row_mask:0xf bank_mask:0xf bound_ctrl:1// 000000003A6C: 290302FA FF091889
	v_or_b32_dpp v130, v138, v130 row_shr:8 row_mask:0xf bank_mask:0xf bound_ctrl:1// 000000003A74: 290504FA FF09188A
	v_or_b32_dpp v131, v139, v131 row_shr:8 row_mask:0xf bank_mask:0xf bound_ctrl:1// 000000003A7C: 290706FA FF09188B
	v_or_b32_dpp v132, v140, v132 row_shr:8 row_mask:0xf bank_mask:0xf bound_ctrl:1// 000000003A84: 290908FA FF09188C
	v_or_b32_dpp v133, v141, v133 row_shr:8 row_mask:0xf bank_mask:0xf bound_ctrl:1// 000000003A8C: 290B0AFA FF09188D
	v_or_b32_dpp v134, v142, v134 row_shr:8 row_mask:0xf bank_mask:0xf bound_ctrl:1// 000000003A94: 290D0CFA FF09188E
	v_or_b32_dpp v135, v143, v135 row_shr:8 row_mask:0xf bank_mask:0xf bound_ctrl:1// 000000003A9C: 290F0EFA FF09188F
	buffer_load_dword v73, v71, s[36:39], 0 offen              // 000000003AA4: E0501000 80094947
	v_mul_f32_e32 v128, v54, v128                              // 000000003AAC: 0B010136
	v_mul_f32_e32 v129, v54, v129                              // 000000003AB0: 0B030336
	v_mul_f32_e32 v130, v54, v130                              // 000000003AB4: 0B050536
	v_mul_f32_e32 v131, v54, v131                              // 000000003AB8: 0B070736
	v_mul_f32_e32 v132, v54, v132                              // 000000003ABC: 0B090936
	v_mul_f32_e32 v133, v54, v133                              // 000000003AC0: 0B0B0B36
	v_mul_f32_e32 v134, v54, v134                              // 000000003AC4: 0B0D0D36
	v_mul_f32_e32 v135, v54, v135                              // 000000003AC8: 0B0F0F36
	buffer_load_dwordx4 a[48:51], v31, s[16:19], 0 offen       // 000000003ACC: E05C1000 8084301F
	v_mul_f32_dpp v128, v248, v128 quad_perm:[0,0,0,0] row_mask:0xf bank_mask:0xf// 000000003AD4: 0B0100FA FF0000F8
	v_mul_f32_dpp v129, v248, v129 quad_perm:[1,1,1,1] row_mask:0xf bank_mask:0xf// 000000003ADC: 0B0302FA FF0055F8
	v_mul_f32_dpp v130, v248, v130 quad_perm:[2,2,2,2] row_mask:0xf bank_mask:0xf// 000000003AE4: 0B0504FA FF00AAF8
	v_mul_f32_dpp v131, v248, v131 quad_perm:[3,3,3,3] row_mask:0xf bank_mask:0xf// 000000003AEC: 0B0706FA FF00FFF8
	v_mul_f32_dpp v132, v249, v132 quad_perm:[0,0,0,0] row_mask:0xf bank_mask:0xf// 000000003AF4: 0B0908FA FF0000F9
	v_mul_f32_dpp v133, v249, v133 quad_perm:[1,1,1,1] row_mask:0xf bank_mask:0xf// 000000003AFC: 0B0B0AFA FF0055F9
	v_mul_f32_dpp v134, v249, v134 quad_perm:[2,2,2,2] row_mask:0xf bank_mask:0xf// 000000003B04: 0B0D0CFA FF00AAF9
	v_mul_f32_dpp v135, v249, v135 quad_perm:[3,3,3,3] row_mask:0xf bank_mask:0xf// 000000003B0C: 0B0F0EFA FF00FFF9
	buffer_load_dwordx4 a[52:55], v31, s[16:19], 0 offen offset:1024// 000000003B14: E05C1400 8084341F
	v_mov_b32_e32 v62, v128                                    // 000000003B1C: 7E7C0380
	v_max3_f32 v62, v128, v129, v62                            // 000000003B20: D1D3003E 04FB0380
	v_max3_f32 v62, v130, v131, v62                            // 000000003B28: D1D3003E 04FB0782
	v_max3_f32 v62, v132, v133, v62                            // 000000003B30: D1D3003E 04FB0B84
	v_max3_f32 v62, v134, v135, v62                            // 000000003B38: D1D3003E 04FB0F86
	ds_write_b32 v11, v62 offset:16896                         // 000000003B40: D81A4200 00003E0B
	buffer_load_dwordx4 a[56:59], v32, s[16:19], 0 offen       // 000000003B48: E05C1000 80843820
	v_mul_u32_u24_dpp v41, v20, v68 row_newbcast:1 row_mask:0xf bank_mask:0xf// 000000003B50: 105288FA FF015114
	v_mul_u32_u24_dpp v42, v20, v68 row_newbcast:5 row_mask:0xf bank_mask:0xf// 000000003B58: 105488FA FF015514
	v_mul_u32_u24_dpp v43, v20, v68 row_newbcast:9 row_mask:0xf bank_mask:0xf// 000000003B60: 105688FA FF015914
	v_mul_u32_u24_dpp v44, v20, v68 row_newbcast:13 row_mask:0xf bank_mask:0xf// 000000003B68: 105888FA FF015D14
	v_add_u32_e32 v37, v41, v7                                 // 000000003B70: 684A0F29
	v_add_u32_e32 v38, v42, v7                                 // 000000003B74: 684C0F2A
	v_add_u32_e32 v39, v43, v7                                 // 000000003B78: 684E0F2B
	v_add_u32_e32 v40, v44, v7                                 // 000000003B7C: 68500F2C
	s_waitcnt lgkmcnt(0)                                       // 000000003B80: BF8CC07F
	s_barrier                                                  // 000000003B84: BF8A0000
	ds_read_b32 v80, v10 offset:16896                          // 000000003B88: D86C4200 5000000A
	ds_read_b32 v81, v10 offset:16960                          // 000000003B90: D86C4240 5100000A
	ds_read_b32 v82, v10 offset:17024                          // 000000003B98: D86C4280 5200000A
	ds_read_b32 v83, v10 offset:17088                          // 000000003BA0: D86C42C0 5300000A
	ds_read_b32 v84, v10 offset:17152                          // 000000003BA8: D86C4300 5400000A
	ds_read_b32 v85, v10 offset:17216                          // 000000003BB0: D86C4340 5500000A
	ds_read_b32 v86, v10 offset:17280                          // 000000003BB8: D86C4380 5600000A
	ds_read_b32 v87, v10 offset:17344                          // 000000003BC0: D86C43C0 5700000A
	ds_read_b32 v88, v10 offset:17408                          // 000000003BC8: D86C4400 5800000A
	ds_read_b32 v89, v10 offset:17472                          // 000000003BD0: D86C4440 5900000A
	ds_read_b32 v90, v10 offset:17536                          // 000000003BD8: D86C4480 5A00000A
	ds_read_b32 v91, v10 offset:17600                          // 000000003BE0: D86C44C0 5B00000A
	ds_read_b32 v92, v10 offset:17664                          // 000000003BE8: D86C4500 5C00000A
	ds_read_b32 v93, v10 offset:17728                          // 000000003BF0: D86C4540 5D00000A
	ds_read_b32 v94, v10 offset:17792                          // 000000003BF8: D86C4580 5E00000A
	ds_read_b32 v95, v10 offset:17856                          // 000000003C00: D86C45C0 5F00000A
	buffer_load_dwordx4 a[60:63], v32, s[16:19], 0 offen offset:1024// 000000003C08: E05C1400 80843C20
	v_mul_f32_e32 v224, v63, v224                              // 000000003C10: 0BC1C13F
	v_mul_f32_e32 v225, v63, v225                              // 000000003C14: 0BC3C33F
	v_mul_f32_e32 v226, v63, v226                              // 000000003C18: 0BC5C53F
	v_mul_f32_e32 v227, v63, v227                              // 000000003C1C: 0BC7C73F
	v_or_b32_dpp v192, v196, v192 row_shr:8 row_mask:0xf bank_mask:0xf bound_ctrl:1// 000000003C20: 298180FA FF0918C4
	v_or_b32_dpp v193, v197, v193 row_shr:8 row_mask:0xf bank_mask:0xf bound_ctrl:1// 000000003C28: 298382FA FF0918C5
	v_or_b32_dpp v194, v198, v194 row_shr:8 row_mask:0xf bank_mask:0xf bound_ctrl:1// 000000003C30: 298584FA FF0918C6
	v_or_b32_dpp v195, v199, v195 row_shr:8 row_mask:0xf bank_mask:0xf bound_ctrl:1// 000000003C38: 298786FA FF0918C7
	s_waitcnt lgkmcnt(0)                                       // 000000003C40: BF8CC07F
	v_max3_f32 v62, v80, v81, v62                              // 000000003C44: D1D3003E 04FAA350
	v_max3_f32 v62, v82, v83, v62                              // 000000003C4C: D1D3003E 04FAA752
	v_max3_f32 v62, v84, v85, v62                              // 000000003C54: D1D3003E 04FAAB54
	v_max3_f32 v62, v86, v87, v62                              // 000000003C5C: D1D3003E 04FAAF56
	v_max3_f32 v62, v88, v89, v62                              // 000000003C64: D1D3003E 04FAB358
	v_max3_f32 v62, v90, v91, v62                              // 000000003C6C: D1D3003E 04FAB75A
	v_max3_f32 v62, v92, v93, v62                              // 000000003C74: D1D3003E 04FABB5C
	v_max3_f32 v62, v94, v95, v62                              // 000000003C7C: D1D3003E 04FABF5E
	buffer_load_dwordx4 a[96:99], v37, s[20:23], 0 offen       // 000000003C84: E05C1000 80856025
	v_cmp_eq_u32_e64 s[40:41], v69, v14                        // 000000003C8C: D0CA0028 00021D45
	s_nop 1                                                    // 000000003C94: BF800001
	v_mov_b32_dpp v41, v62 row_ror:8 row_mask:0xf bank_mask:0xf// 000000003C98: 7E5202FA FF01283E
	v_max_f32_e32 v62, v62, v41                                // 000000003CA0: 167C533E
	v_max_f32_e32 v18, v62, v14                                // 000000003CA4: 16241D3E
	v_mul_f32_e32 v67, s64, v18                                // 000000003CA8: 0A862440
	v_fma_f32 v128, v128, s64, -v67                            // 000000003CAC: D1CB0080 850C8180
	v_fma_f32 v129, v129, s64, -v67                            // 000000003CB4: D1CB0081 850C8181
	v_fma_f32 v130, v130, s64, -v67                            // 000000003CBC: D1CB0082 850C8182
	v_fma_f32 v131, v131, s64, -v67                            // 000000003CC4: D1CB0083 850C8183
	v_fma_f32 v132, v132, s64, -v67                            // 000000003CCC: D1CB0084 850C8184
	v_fma_f32 v133, v133, s64, -v67                            // 000000003CD4: D1CB0085 850C8185
	v_fma_f32 v134, v134, s64, -v67                            // 000000003CDC: D1CB0086 850C8186
	v_fma_f32 v135, v135, s64, -v67                            // 000000003CE4: D1CB0087 850C8187
	buffer_load_dwordx4 a[100:103], v38, s[20:23], 0 offen     // 000000003CEC: E05C1000 80856426
	v_exp_f32_e32 v128, v128                                   // 000000003CF4: 7F004180
	v_exp_f32_e32 v129, v129                                   // 000000003CF8: 7F024181
	v_exp_f32_e32 v130, v130                                   // 000000003CFC: 7F044182
	v_exp_f32_e32 v131, v131                                   // 000000003D00: 7F064183
	v_exp_f32_e32 v132, v132                                   // 000000003D04: 7F084184
	v_exp_f32_e32 v133, v133                                   // 000000003D08: 7F0A4185
	v_exp_f32_e32 v134, v134                                   // 000000003D0C: 7F0C4186
	v_exp_f32_e32 v135, v135                                   // 000000003D10: 7F0E4187
	buffer_load_dwordx4 a[104:107], v39, s[20:23], 0 offen     // 000000003D14: E05C1000 80856827
	v_mul_f32_dpp v240, v252, v128 quad_perm:[0,0,0,0] row_mask:0xf bank_mask:0xf// 000000003D1C: 0BE100FA FF0000FC
	v_mul_f32_dpp v241, v252, v129 quad_perm:[1,1,1,1] row_mask:0xf bank_mask:0xf// 000000003D24: 0BE302FA FF0055FC
	v_mul_f32_dpp v242, v252, v130 quad_perm:[2,2,2,2] row_mask:0xf bank_mask:0xf// 000000003D2C: 0BE504FA FF00AAFC
	v_mul_f32_dpp v243, v252, v131 quad_perm:[3,3,3,3] row_mask:0xf bank_mask:0xf// 000000003D34: 0BE706FA FF00FFFC
	v_mul_f32_dpp v244, v253, v132 quad_perm:[0,0,0,0] row_mask:0xf bank_mask:0xf// 000000003D3C: 0BE908FA FF0000FD
	v_mul_f32_dpp v245, v253, v133 quad_perm:[1,1,1,1] row_mask:0xf bank_mask:0xf// 000000003D44: 0BEB0AFA FF0055FD
	v_mul_f32_dpp v246, v253, v134 quad_perm:[2,2,2,2] row_mask:0xf bank_mask:0xf// 000000003D4C: 0BED0CFA FF00AAFD
	v_mul_f32_dpp v247, v253, v135 quad_perm:[3,3,3,3] row_mask:0xf bank_mask:0xf// 000000003D54: 0BEF0EFA FF00FFFD
	v_mov_b32_e32 v62, 0x358637bd                              // 000000003D5C: 7E7C02FF 358637BD
	v_max3_f32 v62, |v240|, |v241|, v62                        // 000000003D64: D1D3033E 04FBE3F0
	v_max3_f32 v62, |v242|, |v243|, v62                        // 000000003D6C: D1D3033E 04FBE7F2
	v_max3_f32 v62, |v244|, |v245|, v62                        // 000000003D74: D1D3033E 04FBEBF4
	v_max3_f32 v62, |v246|, |v247|, v62                        // 000000003D7C: D1D3033E 04FBEFF6
	buffer_load_dwordx4 a[108:111], v40, s[20:23], 0 offen     // 000000003D84: E05C1000 80856C28
	ds_write_b32 v11, v62 offset:20992                         // 000000003D8C: D81A5200 00003E0B
	v_sub_f32_e32 v63, v14, v18                                // 000000003D94: 047E250E
	v_cndmask_b32_e64 v63, v63, 0, s[40:41]                    // 000000003D98: D100003F 00A1013F
	v_mov_b32_e32 v14, v18                                     // 000000003DA0: 7E1C0312
	v_mul_f32_e32 v63, s64, v63                                // 000000003DA4: 0A7E7E40
	v_exp_f32_e32 v63, v63                                     // 000000003DA8: 7E7E413F
	s_waitcnt lgkmcnt(0)                                       // 000000003DAC: BF8CC07F
	s_barrier                                                  // 000000003DB0: BF8A0000
	ds_read_b32 v80, v10 offset:20992                          // 000000003DB4: D86C5200 5000000A
	ds_read_b32 v81, v10 offset:21056                          // 000000003DBC: D86C5240 5100000A
	ds_read_b32 v82, v10 offset:21120                          // 000000003DC4: D86C5280 5200000A
	ds_read_b32 v83, v10 offset:21184                          // 000000003DCC: D86C52C0 5300000A
	ds_read_b32 v84, v10 offset:21248                          // 000000003DD4: D86C5300 5400000A
	ds_read_b32 v85, v10 offset:21312                          // 000000003DDC: D86C5340 5500000A
	ds_read_b32 v86, v10 offset:21376                          // 000000003DE4: D86C5380 5600000A
	ds_read_b32 v87, v10 offset:21440                          // 000000003DEC: D86C53C0 5700000A
	ds_read_b32 v88, v10 offset:21504                          // 000000003DF4: D86C5400 5800000A
	ds_read_b32 v89, v10 offset:21568                          // 000000003DFC: D86C5440 5900000A
	ds_read_b32 v90, v10 offset:21632                          // 000000003E04: D86C5480 5A00000A
	ds_read_b32 v91, v10 offset:21696                          // 000000003E0C: D86C54C0 5B00000A
	ds_read_b32 v92, v10 offset:21760                          // 000000003E14: D86C5500 5C00000A
	ds_read_b32 v93, v10 offset:21824                          // 000000003E1C: D86C5540 5D00000A
	ds_read_b32 v94, v10 offset:21888                          // 000000003E24: D86C5580 5E00000A
	ds_read_b32 v95, v10 offset:21952                          // 000000003E2C: D86C55C0 5F00000A
	v_mul_f32_e32 v47, v63, v47                                // 000000003E34: 0A5E5F3F
	v_mov_b32_e32 v51, v128                                    // 000000003E38: 7E660380
	v_add_f32_e32 v51, v129, v51                               // 000000003E3C: 02666781
	v_add_f32_e32 v51, v130, v51                               // 000000003E40: 02666782
	v_add_f32_e32 v51, v131, v51                               // 000000003E44: 02666783
	v_add_f32_e32 v51, v132, v51                               // 000000003E48: 02666784
	v_add_f32_e32 v51, v133, v51                               // 000000003E4C: 02666785
	v_add_f32_e32 v51, v134, v51                               // 000000003E50: 02666786
	v_add_f32_e32 v51, v135, v51                               // 000000003E54: 02666787
	v_add_f32_e32 v47, v51, v47                                // 000000003E58: 025E5F33
	s_waitcnt lgkmcnt(0)                                       // 000000003E5C: BF8CC07F
	v_max3_f32 v62, |v80|, |v81|, v62                          // 000000003E60: D1D3033E 04FAA350
	v_max3_f32 v62, |v82|, |v83|, v62                          // 000000003E68: D1D3033E 04FAA752
	v_max3_f32 v62, |v84|, |v85|, v62                          // 000000003E70: D1D3033E 04FAAB54
	v_max3_f32 v62, |v86|, |v87|, v62                          // 000000003E78: D1D3033E 04FAAF56
	v_max3_f32 v62, |v88|, |v89|, v62                          // 000000003E80: D1D3033E 04FAB358
	v_max3_f32 v62, |v90|, |v91|, v62                          // 000000003E88: D1D3033E 04FAB75A
	v_max3_f32 v62, |v92|, |v93|, v62                          // 000000003E90: D1D3033E 04FABB5C
	v_max3_f32 v62, |v94|, |v95|, v62                          // 000000003E98: D1D3033E 04FABF5E
	s_nop 2                                                    // 000000003EA0: BF800002
	v_mov_b32_dpp v41, v62 row_ror:8 row_mask:0xf bank_mask:0xf// 000000003EA4: 7E5202FA FF01283E
	v_max_f32_e32 v62, v62, v41                                // 000000003EAC: 167C533E
	v_rcp_f32_e32 v62, v62                                     // 000000003EB0: 7E7C453E
	s_nop 1                                                    // 000000003EB4: BF800001
	v_mul_f32_e32 v62, 0x43700000, v62                         // 000000003EB8: 0A7C7CFF 43700000
	v_mul_f32_e32 v128, v62, v240                              // 000000003EC0: 0B01E13E
	v_mul_f32_e32 v129, v62, v241                              // 000000003EC4: 0B03E33E
	v_mul_f32_e32 v130, v62, v242                              // 000000003EC8: 0B05E53E
	v_mul_f32_e32 v131, v62, v243                              // 000000003ECC: 0B07E73E
	v_mul_f32_e32 v132, v62, v244                              // 000000003ED0: 0B09E93E
	v_mul_f32_e32 v133, v62, v245                              // 000000003ED4: 0B0BEB3E
	v_mul_f32_e32 v134, v62, v246                              // 000000003ED8: 0B0DED3E
	v_mul_f32_e32 v135, v62, v247                              // 000000003EDC: 0B0FEF3E
	v_cvt_pk_fp8_f32 v128, v128, v129                          // 000000003EE0: D2A20080 00030380
	v_cvt_pk_fp8_f32 v128, v130, v131 op_sel:[0,0,1]           // 000000003EE8: D2A24080 00030782
	v_cvt_pk_fp8_f32 v129, v132, v133                          // 000000003EF0: D2A20081 00030B84
	v_cvt_pk_fp8_f32 v129, v134, v135 op_sel:[0,0,1]           // 000000003EF8: D2A24081 00030F86
	ds_write_b32 v13, v128 offset:25088                        // 000000003F00: D81A6200 0000800D
	ds_write_b32 v13, v129 offset:26112                        // 000000003F08: D81A6600 0000810D
	v_mul_f32_e32 v192, v58, v192                              // 000000003F10: 0B81813A
	v_mul_f32_e32 v193, v58, v193                              // 000000003F14: 0B83833A
	v_mul_f32_e32 v194, v58, v194                              // 000000003F18: 0B85853A
	v_mul_f32_e32 v195, v58, v195                              // 000000003F1C: 0B87873A
	v_rcp_f32_e32 v58, v62                                     // 000000003F20: 7E74453E
	s_waitcnt lgkmcnt(0)                                       // 000000003F24: BF8CC07F
	s_barrier                                                  // 000000003F28: BF8A0000
	ds_read_b64 v[128:129], v12 offset:25088                   // 000000003F2C: D8EC6200 8000000C
	ds_read_b64 v[130:131], v12 offset:25216                   // 000000003F34: D8EC6280 8200000C
	ds_read_b64 v[132:133], v12 offset:26112                   // 000000003F3C: D8EC6600 8400000C
	ds_read_b64 v[134:135], v12 offset:26240                   // 000000003F44: D8EC6680 8600000C
	v_add_f32_e32 v224, v224, v192                             // 000000003F4C: 03C181E0
	v_add_f32_e32 v225, v225, v193                             // 000000003F50: 03C383E1
	v_add_f32_e32 v226, v226, v194                             // 000000003F54: 03C585E2
	v_add_f32_e32 v227, v227, v195                             // 000000003F58: 03C787E3
	s_waitcnt lgkmcnt(3)                                       // 000000003F5C: BF8CC37F
	v_mov_b32_dpp v136, v128 row_shl:8 row_mask:0xf bank_mask:0xf bound_ctrl:1// 000000003F60: 7F1002FA FF090880
	v_and_b32_e32 v128, v128, v9                               // 000000003F68: 27001380
	v_mov_b32_dpp v137, v129 row_shl:8 row_mask:0xf bank_mask:0xf bound_ctrl:1// 000000003F6C: 7F1202FA FF090881
	v_and_b32_e32 v129, v129, v9                               // 000000003F74: 27021381
	s_waitcnt lgkmcnt(2)                                       // 000000003F78: BF8CC27F
	v_mov_b32_dpp v138, v130 row_shl:8 row_mask:0xf bank_mask:0xf bound_ctrl:1// 000000003F7C: 7F1402FA FF090882
	v_and_b32_e32 v130, v130, v9                               // 000000003F84: 27041382
	v_mov_b32_dpp v139, v131 row_shl:8 row_mask:0xf bank_mask:0xf bound_ctrl:1// 000000003F88: 7F1602FA FF090883
	v_and_b32_e32 v131, v131, v9                               // 000000003F90: 27061383
	s_waitcnt lgkmcnt(1)                                       // 000000003F94: BF8CC17F
	v_mov_b32_dpp v140, v132 row_shl:8 row_mask:0xf bank_mask:0xf bound_ctrl:1// 000000003F98: 7F1802FA FF090884
	v_and_b32_e32 v132, v132, v9                               // 000000003FA0: 27081384
	v_mov_b32_dpp v141, v133 row_shl:8 row_mask:0xf bank_mask:0xf bound_ctrl:1// 000000003FA4: 7F1A02FA FF090885
	v_and_b32_e32 v133, v133, v9                               // 000000003FAC: 270A1385
	s_waitcnt lgkmcnt(0)                                       // 000000003FB0: BF8CC07F
	v_mov_b32_dpp v142, v134 row_shl:8 row_mask:0xf bank_mask:0xf bound_ctrl:1// 000000003FB4: 7F1C02FA FF090886
	v_and_b32_e32 v134, v134, v9                               // 000000003FBC: 270C1386
	v_mov_b32_dpp v143, v135 row_shl:8 row_mask:0xf bank_mask:0xf bound_ctrl:1// 000000003FC0: 7F1E02FA FF090887
	v_and_b32_e32 v135, v135, v9                               // 000000003FC8: 270E1387
	s_waitcnt vmcnt(15)                                        // 000000003FCC: BF8C0F7F
	v_mfma_f32_16x16x32_fp8_fp8 v[192:195], a[64:65], v[128:129], 0// 000000003FD0: D3F300C0 0A030140
	buffer_load_dwordx4 a[112:115], v37, s[20:23], 0 offen offset:1024// 000000003FD8: E05C1400 80857025
	v_mfma_f32_16x16x32_fp8_fp8 v[192:195], a[66:67], v[130:131], v[192:195]// 000000003FE0: D3F300C0 0F030542
	v_mfma_f32_16x16x32_fp8_fp8 v[192:195], a[68:69], v[132:133], v[192:195]// 000000003FE8: D3F300C0 0F030944
	v_mfma_f32_16x16x32_fp8_fp8 v[192:195], a[70:71], v[134:135], v[192:195]// 000000003FF0: D3F300C0 0F030D46
	v_mfma_f32_16x16x32_fp8_fp8 v[192:195], a[72:73], v[136:137], v[192:195]// 000000003FF8: D3F300C0 0F031148
	buffer_load_dwordx4 a[116:119], v38, s[20:23], 0 offen offset:1024// 000000004000: E05C1400 80857426
	v_mfma_f32_16x16x32_fp8_fp8 v[192:195], a[74:75], v[138:139], v[192:195]// 000000004008: D3F300C0 0F03154A
	v_mfma_f32_16x16x32_fp8_fp8 v[192:195], a[76:77], v[140:141], v[192:195]// 000000004010: D3F300C0 0F03194C
	v_mfma_f32_16x16x32_fp8_fp8 v[192:195], a[78:79], v[142:143], v[192:195]// 000000004018: D3F300C0 0F031D4E
	v_mfma_f32_16x16x32_fp8_fp8 v[196:199], a[80:81], v[128:129], 0// 000000004020: D3F300C4 0A030150
	buffer_load_dwordx4 a[120:123], v39, s[20:23], 0 offen offset:1024// 000000004028: E05C1400 80857827
	v_mfma_f32_16x16x32_fp8_fp8 v[196:199], a[82:83], v[130:131], v[196:199]// 000000004030: D3F300C4 0F130552
	v_mfma_f32_16x16x32_fp8_fp8 v[196:199], a[84:85], v[132:133], v[196:199]// 000000004038: D3F300C4 0F130954
	v_mfma_f32_16x16x32_fp8_fp8 v[196:199], a[86:87], v[134:135], v[196:199]// 000000004040: D3F300C4 0F130D56
	v_mfma_f32_16x16x32_fp8_fp8 v[196:199], a[88:89], v[136:137], v[196:199]// 000000004048: D3F300C4 0F131158
	buffer_load_dwordx4 a[124:127], v40, s[20:23], 0 offen offset:1024// 000000004050: E05C1400 80857C28
	v_mfma_f32_16x16x32_fp8_fp8 v[196:199], a[90:91], v[138:139], v[196:199]// 000000004058: D3F300C4 0F13155A
	v_mfma_f32_16x16x32_fp8_fp8 v[196:199], a[92:93], v[140:141], v[196:199]// 000000004060: D3F300C4 0F13195C
	s_lshr_b32 s57, s70, 4                                     // 000000004068: 8F398446
	s_add_u32 s57, 48, s57                                     // 00000000406C: 803939B0
	v_mfma_f32_16x16x32_fp8_fp8 v[196:199], a[94:95], v[142:143], v[196:199]// 000000004070: D3F300C4 0F131D5E
	s_cmp_ge_u32 s57, s73                                      // 000000004078: BF094939
	s_cselect_b32 s56, 0, s56                                  // 00000000407C: 85383880
	v_add_u32_e32 v1, s56, v1                                  // 000000004080: 68020238
	s_addk_i32 s70, 0x100                                      // 000000004084: B7460100
	s_cmp_lt_i32 s70, s71                                      // 000000004088: BF044746
	s_cbranch_scc0 label_05C7                                  // 00000000408C: BF84FE23
	s_waitcnt vmcnt(8) lgkmcnt(0)                              // 000000004090: BF8C0078
	v_mul_u32_u24_dpp v41, v19, v68 row_newbcast:0 row_mask:0xf bank_mask:0xf// 000000004094: 105288FA FF015013
	v_mul_u32_u24_dpp v42, v19, v68 row_newbcast:4 row_mask:0xf bank_mask:0xf// 00000000409C: 105488FA FF015413
	v_mul_u32_u24_dpp v43, v19, v68 row_newbcast:8 row_mask:0xf bank_mask:0xf// 0000000040A4: 105688FA FF015813
	v_mul_u32_u24_dpp v44, v19, v68 row_newbcast:12 row_mask:0xf bank_mask:0xf// 0000000040AC: 105888FA FF015C13
	v_add_u32_e32 v25, v41, v6                                 // 0000000040B4: 68320D29
	v_add_u32_e32 v26, v42, v6                                 // 0000000040B8: 68340D2A
	v_add_u32_e32 v27, v43, v6                                 // 0000000040BC: 68360D2B
	v_add_u32_e32 v28, v44, v6                                 // 0000000040C0: 68380D2C
	v_mul_u32_u24_dpp v41, v19, v78 quad_perm:[0,0,0,0] row_mask:0xf bank_mask:0xf// 0000000040C4: 10529CFA FF000013
	v_add_u32_e32 v2, v41, v74                                 // 0000000040CC: 68049529
	v_mul_u32_u24_dpp v41, v19, v78 quad_perm:[0,0,0,0] row_mask:0xf bank_mask:0xf// 0000000040D0: 10529CFA FF000013
	v_add_u32_e32 v70, v41, v75                                // 0000000040D8: 688C9729
	v_mfma_f32_16x16x32_fp8_fp8 v[128:131], a[32:33], v[96:97], 0// 0000000040DC: D3F30080 0A02C120
	buffer_load_dwordx4 a[0:3], v25, s[16:19], 0 offen         // 0000000040E4: E05C1000 80840019
	v_mfma_f32_16x16x32_fp8_fp8 v[128:131], a[34:35], v[98:99], v[128:131]// 0000000040EC: D3F30080 0E02C522
	v_mfma_f32_16x16x32_fp8_fp8 v[128:131], a[36:37], v[100:101], v[128:131]// 0000000040F4: D3F30080 0E02C924
	buffer_load_dword v20, v1, s[24:27], 0 offen               // 0000000040FC: E0501000 80061401
	v_mfma_f32_16x16x32_fp8_fp8 v[128:131], a[38:39], v[102:103], v[128:131]// 000000004104: D3F30080 0E02CD26
	v_mfma_f32_16x16x32_fp8_fp8 v[132:135], a[40:41], v[96:97], 0// 00000000410C: D3F30084 0A02C128
	buffer_load_dwordx4 a[4:7], v25, s[16:19], 0 offen offset:1024// 000000004114: E05C1400 80840419
	v_mfma_f32_16x16x32_fp8_fp8 v[132:135], a[42:43], v[98:99], v[132:135]// 00000000411C: D3F30084 0E12C52A
	v_mfma_f32_16x16x32_fp8_fp8 v[132:135], a[44:45], v[100:101], v[132:135]// 000000004124: D3F30084 0E12C92C
	v_mfma_f32_16x16x32_fp8_fp8 v[132:135], a[46:47], v[102:103], v[132:135]// 00000000412C: D3F30084 0E12CD2E
	v_mfma_f32_16x16x32_fp8_fp8 v[136:139], a[48:49], v[96:97], 0// 000000004134: D3F30088 0A02C130
	buffer_load_dwordx4 a[8:11], v26, s[16:19], 0 offen        // 00000000413C: E05C1000 8084081A
	v_mfma_f32_16x16x32_fp8_fp8 v[136:139], a[50:51], v[98:99], v[136:139]// 000000004144: D3F30088 0E22C532
	v_mfma_f32_16x16x32_fp8_fp8 v[136:139], a[52:53], v[100:101], v[136:139]// 00000000414C: D3F30088 0E22C934
	v_mfma_f32_16x16x32_fp8_fp8 v[136:139], a[54:55], v[102:103], v[136:139]// 000000004154: D3F30088 0E22CD36
	v_mfma_f32_16x16x32_fp8_fp8 v[140:143], a[56:57], v[96:97], 0// 00000000415C: D3F3008C 0A02C138
	buffer_load_dwordx4 a[12:15], v26, s[16:19], 0 offen offset:1024// 000000004164: E05C1400 80840C1A
	v_mfma_f32_16x16x32_fp8_fp8 v[140:143], a[58:59], v[98:99], v[140:143]// 00000000416C: D3F3008C 0E32C53A
	v_mfma_f32_16x16x32_fp8_fp8 v[140:143], a[60:61], v[100:101], v[140:143]// 000000004174: D3F3008C 0E32C93C
	v_mfma_f32_16x16x32_fp8_fp8 v[140:143], a[62:63], v[102:103], v[140:143]// 00000000417C: D3F3008C 0E32CD3E
	buffer_load_dword v52, v2, s[32:35], 0 offen               // 000000004184: E0501000 80083402
	v_mov_b32_dpp v41, v53 row_shr:4 row_mask:0xf bank_mask:0xf// 00000000418C: 7E5202FA FF011435
	v_mov_b32_dpp v42, v53 row_shl:4 row_mask:0xf bank_mask:0xf// 000000004194: 7E5402FA FF010435
	v_cndmask_b32_e64 v248, v53, v41, s[44:45]                 // 00000000419C: D10000F8 00B25335
	v_cndmask_b32_e64 v249, v42, v53, s[44:45]                 // 0000000041A4: D10000F9 00B26B2A
	v_mov_b32_dpp v41, v73 row_shr:4 row_mask:0xf bank_mask:0xf// 0000000041AC: 7E5202FA FF011449
	v_mov_b32_dpp v42, v73 row_shl:4 row_mask:0xf bank_mask:0xf// 0000000041B4: 7E5402FA FF010449
	v_cndmask_b32_e64 v252, v73, v41, s[44:45]                 // 0000000041BC: D10000FC 00B25349
	v_cndmask_b32_e64 v253, v42, v73, s[44:45]                 // 0000000041C4: D10000FD 00B2932A
	v_or_b32_dpp v128, v136, v128 row_shr:8 row_mask:0xf bank_mask:0xf bound_ctrl:1// 0000000041CC: 290100FA FF091888
	v_or_b32_dpp v129, v137, v129 row_shr:8 row_mask:0xf bank_mask:0xf bound_ctrl:1// 0000000041D4: 290302FA FF091889
	v_or_b32_dpp v130, v138, v130 row_shr:8 row_mask:0xf bank_mask:0xf bound_ctrl:1// 0000000041DC: 290504FA FF09188A
	v_or_b32_dpp v131, v139, v131 row_shr:8 row_mask:0xf bank_mask:0xf bound_ctrl:1// 0000000041E4: 290706FA FF09188B
	v_or_b32_dpp v132, v140, v132 row_shr:8 row_mask:0xf bank_mask:0xf bound_ctrl:1// 0000000041EC: 290908FA FF09188C
	v_or_b32_dpp v133, v141, v133 row_shr:8 row_mask:0xf bank_mask:0xf bound_ctrl:1// 0000000041F4: 290B0AFA FF09188D
	v_or_b32_dpp v134, v142, v134 row_shr:8 row_mask:0xf bank_mask:0xf bound_ctrl:1// 0000000041FC: 290D0CFA FF09188E
	v_or_b32_dpp v135, v143, v135 row_shr:8 row_mask:0xf bank_mask:0xf bound_ctrl:1// 000000004204: 290F0EFA FF09188F
	buffer_load_dword v72, v70, s[36:39], 0 offen              // 00000000420C: E0501000 80094846
	v_mul_f32_e32 v128, v54, v128                              // 000000004214: 0B010136
	v_mul_f32_e32 v129, v54, v129                              // 000000004218: 0B030336
	v_mul_f32_e32 v130, v54, v130                              // 00000000421C: 0B050536
	v_mul_f32_e32 v131, v54, v131                              // 000000004220: 0B070736
	v_mul_f32_e32 v132, v54, v132                              // 000000004224: 0B090936
	v_mul_f32_e32 v133, v54, v133                              // 000000004228: 0B0B0B36
	v_mul_f32_e32 v134, v54, v134                              // 00000000422C: 0B0D0D36
	v_mul_f32_e32 v135, v54, v135                              // 000000004230: 0B0F0F36
	buffer_load_dwordx4 a[16:19], v27, s[16:19], 0 offen       // 000000004234: E05C1000 8084101B
	v_mul_f32_dpp v128, v248, v128 quad_perm:[0,0,0,0] row_mask:0xf bank_mask:0xf// 00000000423C: 0B0100FA FF0000F8
	v_mul_f32_dpp v129, v248, v129 quad_perm:[1,1,1,1] row_mask:0xf bank_mask:0xf// 000000004244: 0B0302FA FF0055F8
	v_mul_f32_dpp v130, v248, v130 quad_perm:[2,2,2,2] row_mask:0xf bank_mask:0xf// 00000000424C: 0B0504FA FF00AAF8
	v_mul_f32_dpp v131, v248, v131 quad_perm:[3,3,3,3] row_mask:0xf bank_mask:0xf// 000000004254: 0B0706FA FF00FFF8
	v_mul_f32_dpp v132, v249, v132 quad_perm:[0,0,0,0] row_mask:0xf bank_mask:0xf// 00000000425C: 0B0908FA FF0000F9
	v_mul_f32_dpp v133, v249, v133 quad_perm:[1,1,1,1] row_mask:0xf bank_mask:0xf// 000000004264: 0B0B0AFA FF0055F9
	v_mul_f32_dpp v134, v249, v134 quad_perm:[2,2,2,2] row_mask:0xf bank_mask:0xf// 00000000426C: 0B0D0CFA FF00AAF9
	v_mul_f32_dpp v135, v249, v135 quad_perm:[3,3,3,3] row_mask:0xf bank_mask:0xf// 000000004274: 0B0F0EFA FF00FFF9
	buffer_load_dwordx4 a[20:23], v27, s[16:19], 0 offen offset:1024// 00000000427C: E05C1400 8084141B
	v_mov_b32_e32 v62, v128                                    // 000000004284: 7E7C0380
	v_max3_f32 v62, v128, v129, v62                            // 000000004288: D1D3003E 04FB0380
	v_max3_f32 v62, v130, v131, v62                            // 000000004290: D1D3003E 04FB0782
	v_max3_f32 v62, v132, v133, v62                            // 000000004298: D1D3003E 04FB0B84
	v_max3_f32 v62, v134, v135, v62                            // 0000000042A0: D1D3003E 04FB0F86
	ds_write_b32 v11, v62 offset:16896                         // 0000000042A8: D81A4200 00003E0B
	buffer_load_dwordx4 a[24:27], v28, s[16:19], 0 offen       // 0000000042B0: E05C1000 8084181C
	v_mul_u32_u24_dpp v41, v19, v68 row_newbcast:1 row_mask:0xf bank_mask:0xf// 0000000042B8: 105288FA FF015113
	v_mul_u32_u24_dpp v42, v19, v68 row_newbcast:5 row_mask:0xf bank_mask:0xf// 0000000042C0: 105488FA FF015513
	v_mul_u32_u24_dpp v43, v19, v68 row_newbcast:9 row_mask:0xf bank_mask:0xf// 0000000042C8: 105688FA FF015913
	v_mul_u32_u24_dpp v44, v19, v68 row_newbcast:13 row_mask:0xf bank_mask:0xf// 0000000042D0: 105888FA FF015D13
	v_add_u32_e32 v33, v41, v7                                 // 0000000042D8: 68420F29
	v_add_u32_e32 v34, v42, v7                                 // 0000000042DC: 68440F2A
	v_add_u32_e32 v35, v43, v7                                 // 0000000042E0: 68460F2B
	v_add_u32_e32 v36, v44, v7                                 // 0000000042E4: 68480F2C
	s_waitcnt lgkmcnt(0)                                       // 0000000042E8: BF8CC07F
	s_barrier                                                  // 0000000042EC: BF8A0000
	ds_read_b32 v80, v10 offset:16896                          // 0000000042F0: D86C4200 5000000A
	ds_read_b32 v81, v10 offset:16960                          // 0000000042F8: D86C4240 5100000A
	ds_read_b32 v82, v10 offset:17024                          // 000000004300: D86C4280 5200000A
	ds_read_b32 v83, v10 offset:17088                          // 000000004308: D86C42C0 5300000A
	ds_read_b32 v84, v10 offset:17152                          // 000000004310: D86C4300 5400000A
	ds_read_b32 v85, v10 offset:17216                          // 000000004318: D86C4340 5500000A
	ds_read_b32 v86, v10 offset:17280                          // 000000004320: D86C4380 5600000A
	ds_read_b32 v87, v10 offset:17344                          // 000000004328: D86C43C0 5700000A
	ds_read_b32 v88, v10 offset:17408                          // 000000004330: D86C4400 5800000A
	ds_read_b32 v89, v10 offset:17472                          // 000000004338: D86C4440 5900000A
	ds_read_b32 v90, v10 offset:17536                          // 000000004340: D86C4480 5A00000A
	ds_read_b32 v91, v10 offset:17600                          // 000000004348: D86C44C0 5B00000A
	ds_read_b32 v92, v10 offset:17664                          // 000000004350: D86C4500 5C00000A
	ds_read_b32 v93, v10 offset:17728                          // 000000004358: D86C4540 5D00000A
	ds_read_b32 v94, v10 offset:17792                          // 000000004360: D86C4580 5E00000A
	ds_read_b32 v95, v10 offset:17856                          // 000000004368: D86C45C0 5F00000A
	buffer_load_dwordx4 a[28:31], v28, s[16:19], 0 offen offset:1024// 000000004370: E05C1400 80841C1C
	v_mul_f32_e32 v224, v63, v224                              // 000000004378: 0BC1C13F
	v_mul_f32_e32 v225, v63, v225                              // 00000000437C: 0BC3C33F
	v_mul_f32_e32 v226, v63, v226                              // 000000004380: 0BC5C53F
	v_mul_f32_e32 v227, v63, v227                              // 000000004384: 0BC7C73F
	v_or_b32_dpp v192, v196, v192 row_shr:8 row_mask:0xf bank_mask:0xf bound_ctrl:1// 000000004388: 298180FA FF0918C4
	v_or_b32_dpp v193, v197, v193 row_shr:8 row_mask:0xf bank_mask:0xf bound_ctrl:1// 000000004390: 298382FA FF0918C5
	v_or_b32_dpp v194, v198, v194 row_shr:8 row_mask:0xf bank_mask:0xf bound_ctrl:1// 000000004398: 298584FA FF0918C6
	v_or_b32_dpp v195, v199, v195 row_shr:8 row_mask:0xf bank_mask:0xf bound_ctrl:1// 0000000043A0: 298786FA FF0918C7
	s_waitcnt lgkmcnt(0)                                       // 0000000043A8: BF8CC07F
	v_max3_f32 v62, v80, v81, v62                              // 0000000043AC: D1D3003E 04FAA350
	v_max3_f32 v62, v82, v83, v62                              // 0000000043B4: D1D3003E 04FAA752
	v_max3_f32 v62, v84, v85, v62                              // 0000000043BC: D1D3003E 04FAAB54
	v_max3_f32 v62, v86, v87, v62                              // 0000000043C4: D1D3003E 04FAAF56
	v_max3_f32 v62, v88, v89, v62                              // 0000000043CC: D1D3003E 04FAB358
	v_max3_f32 v62, v90, v91, v62                              // 0000000043D4: D1D3003E 04FAB75A
	v_max3_f32 v62, v92, v93, v62                              // 0000000043DC: D1D3003E 04FABB5C
	v_max3_f32 v62, v94, v95, v62                              // 0000000043E4: D1D3003E 04FABF5E
	buffer_load_dwordx4 a[64:67], v33, s[20:23], 0 offen       // 0000000043EC: E05C1000 80854021
	v_cmp_eq_u32_e64 s[40:41], v69, v14                        // 0000000043F4: D0CA0028 00021D45
	s_nop 1                                                    // 0000000043FC: BF800001
	v_mov_b32_dpp v41, v62 row_ror:8 row_mask:0xf bank_mask:0xf// 000000004400: 7E5202FA FF01283E
	v_max_f32_e32 v62, v62, v41                                // 000000004408: 167C533E
	v_max_f32_e32 v18, v62, v14                                // 00000000440C: 16241D3E
	v_mul_f32_e32 v67, s64, v18                                // 000000004410: 0A862440
	v_fma_f32 v128, v128, s64, -v67                            // 000000004414: D1CB0080 850C8180
	v_fma_f32 v129, v129, s64, -v67                            // 00000000441C: D1CB0081 850C8181
	v_fma_f32 v130, v130, s64, -v67                            // 000000004424: D1CB0082 850C8182
	v_fma_f32 v131, v131, s64, -v67                            // 00000000442C: D1CB0083 850C8183
	v_fma_f32 v132, v132, s64, -v67                            // 000000004434: D1CB0084 850C8184
	v_fma_f32 v133, v133, s64, -v67                            // 00000000443C: D1CB0085 850C8185
	v_fma_f32 v134, v134, s64, -v67                            // 000000004444: D1CB0086 850C8186
	v_fma_f32 v135, v135, s64, -v67                            // 00000000444C: D1CB0087 850C8187
	buffer_load_dwordx4 a[68:71], v34, s[20:23], 0 offen       // 000000004454: E05C1000 80854422
	v_exp_f32_e32 v128, v128                                   // 00000000445C: 7F004180
	v_exp_f32_e32 v129, v129                                   // 000000004460: 7F024181
	v_exp_f32_e32 v130, v130                                   // 000000004464: 7F044182
	v_exp_f32_e32 v131, v131                                   // 000000004468: 7F064183
	v_exp_f32_e32 v132, v132                                   // 00000000446C: 7F084184
	v_exp_f32_e32 v133, v133                                   // 000000004470: 7F0A4185
	v_exp_f32_e32 v134, v134                                   // 000000004474: 7F0C4186
	v_exp_f32_e32 v135, v135                                   // 000000004478: 7F0E4187
	buffer_load_dwordx4 a[72:75], v35, s[20:23], 0 offen       // 00000000447C: E05C1000 80854823
	v_mul_f32_dpp v240, v252, v128 quad_perm:[0,0,0,0] row_mask:0xf bank_mask:0xf// 000000004484: 0BE100FA FF0000FC
	v_mul_f32_dpp v241, v252, v129 quad_perm:[1,1,1,1] row_mask:0xf bank_mask:0xf// 00000000448C: 0BE302FA FF0055FC
	v_mul_f32_dpp v242, v252, v130 quad_perm:[2,2,2,2] row_mask:0xf bank_mask:0xf// 000000004494: 0BE504FA FF00AAFC
	v_mul_f32_dpp v243, v252, v131 quad_perm:[3,3,3,3] row_mask:0xf bank_mask:0xf// 00000000449C: 0BE706FA FF00FFFC
	v_mul_f32_dpp v244, v253, v132 quad_perm:[0,0,0,0] row_mask:0xf bank_mask:0xf// 0000000044A4: 0BE908FA FF0000FD
	v_mul_f32_dpp v245, v253, v133 quad_perm:[1,1,1,1] row_mask:0xf bank_mask:0xf// 0000000044AC: 0BEB0AFA FF0055FD
	v_mul_f32_dpp v246, v253, v134 quad_perm:[2,2,2,2] row_mask:0xf bank_mask:0xf// 0000000044B4: 0BED0CFA FF00AAFD
	v_mul_f32_dpp v247, v253, v135 quad_perm:[3,3,3,3] row_mask:0xf bank_mask:0xf// 0000000044BC: 0BEF0EFA FF00FFFD
	v_mov_b32_e32 v62, 0x358637bd                              // 0000000044C4: 7E7C02FF 358637BD
	v_max3_f32 v62, |v240|, |v241|, v62                        // 0000000044CC: D1D3033E 04FBE3F0
	v_max3_f32 v62, |v242|, |v243|, v62                        // 0000000044D4: D1D3033E 04FBE7F2
	v_max3_f32 v62, |v244|, |v245|, v62                        // 0000000044DC: D1D3033E 04FBEBF4
	v_max3_f32 v62, |v246|, |v247|, v62                        // 0000000044E4: D1D3033E 04FBEFF6
	buffer_load_dwordx4 a[76:79], v36, s[20:23], 0 offen       // 0000000044EC: E05C1000 80854C24
	ds_write_b32 v11, v62 offset:20992                         // 0000000044F4: D81A5200 00003E0B
	v_sub_f32_e32 v63, v14, v18                                // 0000000044FC: 047E250E
	v_cndmask_b32_e64 v63, v63, 0, s[40:41]                    // 000000004500: D100003F 00A1013F
	v_mov_b32_e32 v14, v18                                     // 000000004508: 7E1C0312
	v_mul_f32_e32 v63, s64, v63                                // 00000000450C: 0A7E7E40
	v_exp_f32_e32 v63, v63                                     // 000000004510: 7E7E413F
	s_waitcnt lgkmcnt(0)                                       // 000000004514: BF8CC07F
	s_barrier                                                  // 000000004518: BF8A0000
	ds_read_b32 v80, v10 offset:20992                          // 00000000451C: D86C5200 5000000A
	ds_read_b32 v81, v10 offset:21056                          // 000000004524: D86C5240 5100000A
	ds_read_b32 v82, v10 offset:21120                          // 00000000452C: D86C5280 5200000A
	ds_read_b32 v83, v10 offset:21184                          // 000000004534: D86C52C0 5300000A
	ds_read_b32 v84, v10 offset:21248                          // 00000000453C: D86C5300 5400000A
	ds_read_b32 v85, v10 offset:21312                          // 000000004544: D86C5340 5500000A
	ds_read_b32 v86, v10 offset:21376                          // 00000000454C: D86C5380 5600000A
	ds_read_b32 v87, v10 offset:21440                          // 000000004554: D86C53C0 5700000A
	ds_read_b32 v88, v10 offset:21504                          // 00000000455C: D86C5400 5800000A
	ds_read_b32 v89, v10 offset:21568                          // 000000004564: D86C5440 5900000A
	ds_read_b32 v90, v10 offset:21632                          // 00000000456C: D86C5480 5A00000A
	ds_read_b32 v91, v10 offset:21696                          // 000000004574: D86C54C0 5B00000A
	ds_read_b32 v92, v10 offset:21760                          // 00000000457C: D86C5500 5C00000A
	ds_read_b32 v93, v10 offset:21824                          // 000000004584: D86C5540 5D00000A
	ds_read_b32 v94, v10 offset:21888                          // 00000000458C: D86C5580 5E00000A
	ds_read_b32 v95, v10 offset:21952                          // 000000004594: D86C55C0 5F00000A
	v_mul_f32_e32 v47, v63, v47                                // 00000000459C: 0A5E5F3F
	v_mov_b32_e32 v51, v128                                    // 0000000045A0: 7E660380
	v_add_f32_e32 v51, v129, v51                               // 0000000045A4: 02666781
	v_add_f32_e32 v51, v130, v51                               // 0000000045A8: 02666782
	v_add_f32_e32 v51, v131, v51                               // 0000000045AC: 02666783
	v_add_f32_e32 v51, v132, v51                               // 0000000045B0: 02666784
	v_add_f32_e32 v51, v133, v51                               // 0000000045B4: 02666785
	v_add_f32_e32 v51, v134, v51                               // 0000000045B8: 02666786
	v_add_f32_e32 v51, v135, v51                               // 0000000045BC: 02666787
	v_add_f32_e32 v47, v51, v47                                // 0000000045C0: 025E5F33
	s_waitcnt lgkmcnt(0)                                       // 0000000045C4: BF8CC07F
	v_max3_f32 v62, |v80|, |v81|, v62                          // 0000000045C8: D1D3033E 04FAA350
	v_max3_f32 v62, |v82|, |v83|, v62                          // 0000000045D0: D1D3033E 04FAA752
	v_max3_f32 v62, |v84|, |v85|, v62                          // 0000000045D8: D1D3033E 04FAAB54
	v_max3_f32 v62, |v86|, |v87|, v62                          // 0000000045E0: D1D3033E 04FAAF56
	v_max3_f32 v62, |v88|, |v89|, v62                          // 0000000045E8: D1D3033E 04FAB358
	v_max3_f32 v62, |v90|, |v91|, v62                          // 0000000045F0: D1D3033E 04FAB75A
	v_max3_f32 v62, |v92|, |v93|, v62                          // 0000000045F8: D1D3033E 04FABB5C
	v_max3_f32 v62, |v94|, |v95|, v62                          // 000000004600: D1D3033E 04FABF5E
	s_nop 2                                                    // 000000004608: BF800002
	v_mov_b32_dpp v41, v62 row_ror:8 row_mask:0xf bank_mask:0xf// 00000000460C: 7E5202FA FF01283E
	v_max_f32_e32 v62, v62, v41                                // 000000004614: 167C533E
	v_rcp_f32_e32 v62, v62                                     // 000000004618: 7E7C453E
	s_nop 1                                                    // 00000000461C: BF800001
	v_mul_f32_e32 v62, 0x43700000, v62                         // 000000004620: 0A7C7CFF 43700000
	v_mul_f32_e32 v128, v62, v240                              // 000000004628: 0B01E13E
	v_mul_f32_e32 v129, v62, v241                              // 00000000462C: 0B03E33E
	v_mul_f32_e32 v130, v62, v242                              // 000000004630: 0B05E53E
	v_mul_f32_e32 v131, v62, v243                              // 000000004634: 0B07E73E
	v_mul_f32_e32 v132, v62, v244                              // 000000004638: 0B09E93E
	v_mul_f32_e32 v133, v62, v245                              // 00000000463C: 0B0BEB3E
	v_mul_f32_e32 v134, v62, v246                              // 000000004640: 0B0DED3E
	v_mul_f32_e32 v135, v62, v247                              // 000000004644: 0B0FEF3E
	v_cvt_pk_fp8_f32 v128, v128, v129                          // 000000004648: D2A20080 00030380
	v_cvt_pk_fp8_f32 v128, v130, v131 op_sel:[0,0,1]           // 000000004650: D2A24080 00030782
	v_cvt_pk_fp8_f32 v129, v132, v133                          // 000000004658: D2A20081 00030B84
	v_cvt_pk_fp8_f32 v129, v134, v135 op_sel:[0,0,1]           // 000000004660: D2A24081 00030F86
	ds_write_b32 v13, v128 offset:25088                        // 000000004668: D81A6200 0000800D
	ds_write_b32 v13, v129 offset:26112                        // 000000004670: D81A6600 0000810D
	v_mul_f32_e32 v192, v58, v192                              // 000000004678: 0B81813A
	v_mul_f32_e32 v193, v58, v193                              // 00000000467C: 0B83833A
	v_mul_f32_e32 v194, v58, v194                              // 000000004680: 0B85853A
	v_mul_f32_e32 v195, v58, v195                              // 000000004684: 0B87873A
	v_rcp_f32_e32 v58, v62                                     // 000000004688: 7E74453E
	s_waitcnt lgkmcnt(0)                                       // 00000000468C: BF8CC07F
	s_barrier                                                  // 000000004690: BF8A0000
	ds_read_b64 v[128:129], v12 offset:25088                   // 000000004694: D8EC6200 8000000C
	ds_read_b64 v[130:131], v12 offset:25216                   // 00000000469C: D8EC6280 8200000C
	ds_read_b64 v[132:133], v12 offset:26112                   // 0000000046A4: D8EC6600 8400000C
	ds_read_b64 v[134:135], v12 offset:26240                   // 0000000046AC: D8EC6680 8600000C
	v_add_f32_e32 v224, v224, v192                             // 0000000046B4: 03C181E0
	v_add_f32_e32 v225, v225, v193                             // 0000000046B8: 03C383E1
	v_add_f32_e32 v226, v226, v194                             // 0000000046BC: 03C585E2
	v_add_f32_e32 v227, v227, v195                             // 0000000046C0: 03C787E3
	s_waitcnt lgkmcnt(3)                                       // 0000000046C4: BF8CC37F
	v_mov_b32_dpp v136, v128 row_shl:8 row_mask:0xf bank_mask:0xf bound_ctrl:1// 0000000046C8: 7F1002FA FF090880
	v_and_b32_e32 v128, v128, v9                               // 0000000046D0: 27001380
	v_mov_b32_dpp v137, v129 row_shl:8 row_mask:0xf bank_mask:0xf bound_ctrl:1// 0000000046D4: 7F1202FA FF090881
	v_and_b32_e32 v129, v129, v9                               // 0000000046DC: 27021381
	s_waitcnt lgkmcnt(2)                                       // 0000000046E0: BF8CC27F
	v_mov_b32_dpp v138, v130 row_shl:8 row_mask:0xf bank_mask:0xf bound_ctrl:1// 0000000046E4: 7F1402FA FF090882
	v_and_b32_e32 v130, v130, v9                               // 0000000046EC: 27041382
	v_mov_b32_dpp v139, v131 row_shl:8 row_mask:0xf bank_mask:0xf bound_ctrl:1// 0000000046F0: 7F1602FA FF090883
	v_and_b32_e32 v131, v131, v9                               // 0000000046F8: 27061383
	s_waitcnt lgkmcnt(1)                                       // 0000000046FC: BF8CC17F
	v_mov_b32_dpp v140, v132 row_shl:8 row_mask:0xf bank_mask:0xf bound_ctrl:1// 000000004700: 7F1802FA FF090884
	v_and_b32_e32 v132, v132, v9                               // 000000004708: 27081384
	v_mov_b32_dpp v141, v133 row_shl:8 row_mask:0xf bank_mask:0xf bound_ctrl:1// 00000000470C: 7F1A02FA FF090885
	v_and_b32_e32 v133, v133, v9                               // 000000004714: 270A1385
	s_waitcnt lgkmcnt(0)                                       // 000000004718: BF8CC07F
	v_mov_b32_dpp v142, v134 row_shl:8 row_mask:0xf bank_mask:0xf bound_ctrl:1// 00000000471C: 7F1C02FA FF090886
	v_and_b32_e32 v134, v134, v9                               // 000000004724: 270C1386
	v_mov_b32_dpp v143, v135 row_shl:8 row_mask:0xf bank_mask:0xf bound_ctrl:1// 000000004728: 7F1E02FA FF090887
	v_and_b32_e32 v135, v135, v9                               // 000000004730: 270E1387
	s_waitcnt vmcnt(15)                                        // 000000004734: BF8C0F7F
	v_mfma_f32_16x16x32_fp8_fp8 v[192:195], a[96:97], v[128:129], 0// 000000004738: D3F300C0 0A030160
	buffer_load_dwordx4 a[80:83], v33, s[20:23], 0 offen offset:1024// 000000004740: E05C1400 80855021
	v_mfma_f32_16x16x32_fp8_fp8 v[192:195], a[98:99], v[130:131], v[192:195]// 000000004748: D3F300C0 0F030562
	v_mfma_f32_16x16x32_fp8_fp8 v[192:195], a[100:101], v[132:133], v[192:195]// 000000004750: D3F300C0 0F030964
	v_mfma_f32_16x16x32_fp8_fp8 v[192:195], a[102:103], v[134:135], v[192:195]// 000000004758: D3F300C0 0F030D66
	v_mfma_f32_16x16x32_fp8_fp8 v[192:195], a[104:105], v[136:137], v[192:195]// 000000004760: D3F300C0 0F031168
	buffer_load_dwordx4 a[84:87], v34, s[20:23], 0 offen offset:1024// 000000004768: E05C1400 80855422
	v_mfma_f32_16x16x32_fp8_fp8 v[192:195], a[106:107], v[138:139], v[192:195]// 000000004770: D3F300C0 0F03156A
	v_mfma_f32_16x16x32_fp8_fp8 v[192:195], a[108:109], v[140:141], v[192:195]// 000000004778: D3F300C0 0F03196C
	v_mfma_f32_16x16x32_fp8_fp8 v[192:195], a[110:111], v[142:143], v[192:195]// 000000004780: D3F300C0 0F031D6E
	v_mfma_f32_16x16x32_fp8_fp8 v[196:199], a[112:113], v[128:129], 0// 000000004788: D3F300C4 0A030170
	buffer_load_dwordx4 a[88:91], v35, s[20:23], 0 offen offset:1024// 000000004790: E05C1400 80855823
	v_mfma_f32_16x16x32_fp8_fp8 v[196:199], a[114:115], v[130:131], v[196:199]// 000000004798: D3F300C4 0F130572
	v_mfma_f32_16x16x32_fp8_fp8 v[196:199], a[116:117], v[132:133], v[196:199]// 0000000047A0: D3F300C4 0F130974
	v_mfma_f32_16x16x32_fp8_fp8 v[196:199], a[118:119], v[134:135], v[196:199]// 0000000047A8: D3F300C4 0F130D76
	v_mfma_f32_16x16x32_fp8_fp8 v[196:199], a[120:121], v[136:137], v[196:199]// 0000000047B0: D3F300C4 0F131178
	buffer_load_dwordx4 a[92:95], v36, s[20:23], 0 offen offset:1024// 0000000047B8: E05C1400 80855C24
	v_mfma_f32_16x16x32_fp8_fp8 v[196:199], a[122:123], v[138:139], v[196:199]// 0000000047C0: D3F300C4 0F13157A
	v_mfma_f32_16x16x32_fp8_fp8 v[196:199], a[124:125], v[140:141], v[196:199]// 0000000047C8: D3F300C4 0F13197C
	s_lshr_b32 s57, s70, 4                                     // 0000000047D0: 8F398446
	s_add_u32 s57, 48, s57                                     // 0000000047D4: 803939B0
	v_mfma_f32_16x16x32_fp8_fp8 v[196:199], a[126:127], v[142:143], v[196:199]// 0000000047D8: D3F300C4 0F131D7E
	s_cmp_ge_u32 s57, s73                                      // 0000000047E0: BF094939
	s_cselect_b32 s56, 0, s56                                  // 0000000047E4: 85383880
	v_add_u32_e32 v1, s56, v1                                  // 0000000047E8: 68020238
	s_addk_i32 s70, 0x100                                      // 0000000047EC: B7460100
	s_cmp_lt_i32 s70, s71                                      // 0000000047F0: BF044746
	s_cbranch_scc0 label_05C7                                  // 0000000047F4: BF84FC49
	s_branch label_05CA                                        // 0000000047F8: BF82FC4B

00000000000047fc <label_097F>:
	s_lshr_b32 s60, s71, 4                                     // 0000000047FC: 8F3C8447
	s_cmp_eq_i32 s60, s73                                      // 000000004800: BF00493C
	s_cbranch_scc1 label_0D40                                  // 000000004804: BF8503BE
	s_lshr_b32 s60, s71, 8                                     // 000000004808: 8F3C8847
	s_and_b32 s60, s60, 1                                      // 00000000480C: 863C813C
	s_cmp_eq_i32 s60, 1                                        // 000000004810: BF00813C
	s_cbranch_scc1 label_0B63                                  // 000000004814: BF8501DD
	s_waitcnt vmcnt(8) lgkmcnt(0)                              // 000000004818: BF8C0078
	s_barrier                                                  // 00000000481C: BF8A0000
	v_mfma_f32_16x16x32_fp8_fp8 v[128:131], a[0:1], v[96:97], 0// 000000004820: D3F30080 0A02C100
	v_mfma_f32_16x16x32_fp8_fp8 v[128:131], a[2:3], v[98:99], v[128:131]// 000000004828: D3F30080 0E02C502
	v_mfma_f32_16x16x32_fp8_fp8 v[128:131], a[4:5], v[100:101], v[128:131]// 000000004830: D3F30080 0E02C904
	v_mfma_f32_16x16x32_fp8_fp8 v[128:131], a[6:7], v[102:103], v[128:131]// 000000004838: D3F30080 0E02CD06
	v_mfma_f32_16x16x32_fp8_fp8 v[132:135], a[8:9], v[96:97], 0// 000000004840: D3F30084 0A02C108
	v_mfma_f32_16x16x32_fp8_fp8 v[132:135], a[10:11], v[98:99], v[132:135]// 000000004848: D3F30084 0E12C50A
	v_mfma_f32_16x16x32_fp8_fp8 v[132:135], a[12:13], v[100:101], v[132:135]// 000000004850: D3F30084 0E12C90C
	v_mfma_f32_16x16x32_fp8_fp8 v[132:135], a[14:15], v[102:103], v[132:135]// 000000004858: D3F30084 0E12CD0E
	v_mfma_f32_16x16x32_fp8_fp8 v[136:139], a[16:17], v[96:97], 0// 000000004860: D3F30088 0A02C110
	v_mfma_f32_16x16x32_fp8_fp8 v[136:139], a[18:19], v[98:99], v[136:139]// 000000004868: D3F30088 0E22C512
	v_mfma_f32_16x16x32_fp8_fp8 v[136:139], a[20:21], v[100:101], v[136:139]// 000000004870: D3F30088 0E22C914
	v_mfma_f32_16x16x32_fp8_fp8 v[136:139], a[22:23], v[102:103], v[136:139]// 000000004878: D3F30088 0E22CD16
	v_mfma_f32_16x16x32_fp8_fp8 v[140:143], a[24:25], v[96:97], 0// 000000004880: D3F3008C 0A02C118
	v_mfma_f32_16x16x32_fp8_fp8 v[140:143], a[26:27], v[98:99], v[140:143]// 000000004888: D3F3008C 0E32C51A
	v_mfma_f32_16x16x32_fp8_fp8 v[140:143], a[28:29], v[100:101], v[140:143]// 000000004890: D3F3008C 0E32C91C
	v_mfma_f32_16x16x32_fp8_fp8 v[140:143], a[30:31], v[102:103], v[140:143]// 000000004898: D3F3008C 0E32CD1E
	v_mov_b32_dpp v41, v52 row_shr:4 row_mask:0xf bank_mask:0xf// 0000000048A0: 7E5202FA FF011434
	v_mov_b32_dpp v42, v52 row_shl:4 row_mask:0xf bank_mask:0xf// 0000000048A8: 7E5402FA FF010434
	v_cndmask_b32_e64 v248, v52, v41, s[44:45]                 // 0000000048B0: D10000F8 00B25334
	v_cndmask_b32_e64 v249, v42, v52, s[44:45]                 // 0000000048B8: D10000F9 00B2692A
	v_mov_b32_dpp v41, v72 row_shr:4 row_mask:0xf bank_mask:0xf// 0000000048C0: 7E5202FA FF011448
	v_mov_b32_dpp v42, v72 row_shl:4 row_mask:0xf bank_mask:0xf// 0000000048C8: 7E5402FA FF010448
	v_cndmask_b32_e64 v252, v72, v41, s[44:45]                 // 0000000048D0: D10000FC 00B25348
	v_cndmask_b32_e64 v253, v42, v72, s[44:45]                 // 0000000048D8: D10000FD 00B2912A
	v_or_b32_dpp v128, v136, v128 row_shr:8 row_mask:0xf bank_mask:0xf bound_ctrl:1// 0000000048E0: 290100FA FF091888
	v_or_b32_dpp v129, v137, v129 row_shr:8 row_mask:0xf bank_mask:0xf bound_ctrl:1// 0000000048E8: 290302FA FF091889
	v_or_b32_dpp v130, v138, v130 row_shr:8 row_mask:0xf bank_mask:0xf bound_ctrl:1// 0000000048F0: 290504FA FF09188A
	v_or_b32_dpp v131, v139, v131 row_shr:8 row_mask:0xf bank_mask:0xf bound_ctrl:1// 0000000048F8: 290706FA FF09188B
	v_or_b32_dpp v132, v140, v132 row_shr:8 row_mask:0xf bank_mask:0xf bound_ctrl:1// 000000004900: 290908FA FF09188C
	v_or_b32_dpp v133, v141, v133 row_shr:8 row_mask:0xf bank_mask:0xf bound_ctrl:1// 000000004908: 290B0AFA FF09188D
	v_or_b32_dpp v134, v142, v134 row_shr:8 row_mask:0xf bank_mask:0xf bound_ctrl:1// 000000004910: 290D0CFA FF09188E
	v_or_b32_dpp v135, v143, v135 row_shr:8 row_mask:0xf bank_mask:0xf bound_ctrl:1// 000000004918: 290F0EFA FF09188F
	v_mul_f32_e32 v128, v54, v128                              // 000000004920: 0B010136
	v_mul_f32_e32 v129, v54, v129                              // 000000004924: 0B030336
	v_mul_f32_e32 v130, v54, v130                              // 000000004928: 0B050536
	v_mul_f32_e32 v131, v54, v131                              // 00000000492C: 0B070736
	v_mul_f32_e32 v132, v54, v132                              // 000000004930: 0B090936
	v_mul_f32_e32 v133, v54, v133                              // 000000004934: 0B0B0B36
	v_mul_f32_e32 v134, v54, v134                              // 000000004938: 0B0D0D36
	v_mul_f32_e32 v135, v54, v135                              // 00000000493C: 0B0F0F36
	v_mul_f32_dpp v128, v248, v128 quad_perm:[0,0,0,0] row_mask:0xf bank_mask:0xf// 000000004940: 0B0100FA FF0000F8
	v_mul_f32_dpp v129, v248, v129 quad_perm:[1,1,1,1] row_mask:0xf bank_mask:0xf// 000000004948: 0B0302FA FF0055F8
	v_mul_f32_dpp v130, v248, v130 quad_perm:[2,2,2,2] row_mask:0xf bank_mask:0xf// 000000004950: 0B0504FA FF00AAF8
	v_mul_f32_dpp v131, v248, v131 quad_perm:[3,3,3,3] row_mask:0xf bank_mask:0xf// 000000004958: 0B0706FA FF00FFF8
	v_mul_f32_dpp v132, v249, v132 quad_perm:[0,0,0,0] row_mask:0xf bank_mask:0xf// 000000004960: 0B0908FA FF0000F9
	v_mul_f32_dpp v133, v249, v133 quad_perm:[1,1,1,1] row_mask:0xf bank_mask:0xf// 000000004968: 0B0B0AFA FF0055F9
	v_mul_f32_dpp v134, v249, v134 quad_perm:[2,2,2,2] row_mask:0xf bank_mask:0xf// 000000004970: 0B0D0CFA FF00AAF9
	v_mul_f32_dpp v135, v249, v135 quad_perm:[3,3,3,3] row_mask:0xf bank_mask:0xf// 000000004978: 0B0F0EFA FF00FFF9
	s_and_b32 s60, s72, 0xff                                   // 000000004980: 863CFF48 000000FF
	v_mov_b32_e32 v79, s60                                     // 000000004988: 7E9E023C
	v_lshrrev_b32_e32 v240, 4, v0                              // 00000000498C: 21E00084
	v_mul_i32_i24_e32 v240, 4, v240                            // 000000004990: 0DE1E084
	v_and_b32_e32 v41, 15, v0                                  // 000000004994: 2652008F
	v_lshrrev_b32_e32 v41, 3, v41                              // 000000004998: 20525283
	v_mul_i32_i24_e32 v41, 0x80, v41                           // 00000000499C: 0C5252FF 00000080
	v_add_u32_e32 v240, v41, v240                              // 0000000049A4: 69E1E129
	s_mul_i32 s60, s7, 16                                      // 0000000049A8: 923C9007
	v_add_u32_e32 v240, s60, v240                              // 0000000049AC: 69E1E03C
	v_add_u32_e32 v241, 1, v240                                // 0000000049B0: 69E3E081
	v_add_u32_e32 v242, 2, v240                                // 0000000049B4: 69E5E082
	v_add_u32_e32 v243, 3, v240                                // 0000000049B8: 69E7E083
	v_cmp_lt_u32_e64 s[40:41], v240, v79                       // 0000000049BC: D0C90028 00029FF0
	v_add_u32_e32 v240, 64, v240                               // 0000000049C4: 69E1E0C0
	s_nop 0                                                    // 0000000049C8: BF800000
	v_cndmask_b32_e64 v128, v69, v128, s[40:41]                // 0000000049CC: D1000080 00A30145
	v_cmp_lt_u32_e64 s[40:41], v241, v79                       // 0000000049D4: D0C90028 00029FF1
	v_add_u32_e32 v241, 64, v241                               // 0000000049DC: 69E3E2C0
	s_nop 0                                                    // 0000000049E0: BF800000
	v_cndmask_b32_e64 v129, v69, v129, s[40:41]                // 0000000049E4: D1000081 00A30345
	v_cmp_lt_u32_e64 s[40:41], v242, v79                       // 0000000049EC: D0C90028 00029FF2
	v_add_u32_e32 v242, 64, v242                               // 0000000049F4: 69E5E4C0
	s_nop 0                                                    // 0000000049F8: BF800000
	v_cndmask_b32_e64 v130, v69, v130, s[40:41]                // 0000000049FC: D1000082 00A30545
	v_cmp_lt_u32_e64 s[40:41], v243, v79                       // 000000004A04: D0C90028 00029FF3
	v_add_u32_e32 v243, 64, v243                               // 000000004A0C: 69E7E6C0
	s_nop 0                                                    // 000000004A10: BF800000
	v_cndmask_b32_e64 v131, v69, v131, s[40:41]                // 000000004A14: D1000083 00A30745
	v_cmp_lt_u32_e64 s[40:41], v240, v79                       // 000000004A1C: D0C90028 00029FF0
	v_add_u32_e32 v240, 64, v240                               // 000000004A24: 69E1E0C0
	s_nop 0                                                    // 000000004A28: BF800000
	v_cndmask_b32_e64 v132, v69, v132, s[40:41]                // 000000004A2C: D1000084 00A30945
	v_cmp_lt_u32_e64 s[40:41], v241, v79                       // 000000004A34: D0C90028 00029FF1
	v_add_u32_e32 v241, 64, v241                               // 000000004A3C: 69E3E2C0
	s_nop 0                                                    // 000000004A40: BF800000
	v_cndmask_b32_e64 v133, v69, v133, s[40:41]                // 000000004A44: D1000085 00A30B45
	v_cmp_lt_u32_e64 s[40:41], v242, v79                       // 000000004A4C: D0C90028 00029FF2
	v_add_u32_e32 v242, 64, v242                               // 000000004A54: 69E5E4C0
	s_nop 0                                                    // 000000004A58: BF800000
	v_cndmask_b32_e64 v134, v69, v134, s[40:41]                // 000000004A5C: D1000086 00A30D45
	v_cmp_lt_u32_e64 s[40:41], v243, v79                       // 000000004A64: D0C90028 00029FF3
	v_add_u32_e32 v243, 64, v243                               // 000000004A6C: 69E7E6C0
	s_nop 0                                                    // 000000004A70: BF800000
	v_cndmask_b32_e64 v135, v69, v135, s[40:41]                // 000000004A74: D1000087 00A30F45
	v_mov_b32_e32 v62, v128                                    // 000000004A7C: 7E7C0380
	v_max3_f32 v62, v128, v129, v62                            // 000000004A80: D1D3003E 04FB0380
	v_max3_f32 v62, v130, v131, v62                            // 000000004A88: D1D3003E 04FB0782
	v_max3_f32 v62, v132, v133, v62                            // 000000004A90: D1D3003E 04FB0B84
	v_max3_f32 v62, v134, v135, v62                            // 000000004A98: D1D3003E 04FB0F86
	ds_write_b32 v11, v62 offset:16896                         // 000000004AA0: D81A4200 00003E0B
	v_mul_u32_u24_dpp v41, v20, v68 row_newbcast:1 row_mask:0xf bank_mask:0xf// 000000004AA8: 105288FA FF015114
	v_mul_u32_u24_dpp v42, v20, v68 row_newbcast:5 row_mask:0xf bank_mask:0xf// 000000004AB0: 105488FA FF015514
	v_mul_u32_u24_dpp v43, v20, v68 row_newbcast:9 row_mask:0xf bank_mask:0xf// 000000004AB8: 105688FA FF015914
	v_mul_u32_u24_dpp v44, v20, v68 row_newbcast:13 row_mask:0xf bank_mask:0xf// 000000004AC0: 105888FA FF015D14
	v_add_u32_e32 v37, v41, v7                                 // 000000004AC8: 684A0F29
	v_add_u32_e32 v38, v42, v7                                 // 000000004ACC: 684C0F2A
	v_add_u32_e32 v39, v43, v7                                 // 000000004AD0: 684E0F2B
	v_add_u32_e32 v40, v44, v7                                 // 000000004AD4: 68500F2C
	s_waitcnt lgkmcnt(0)                                       // 000000004AD8: BF8CC07F
	s_barrier                                                  // 000000004ADC: BF8A0000
	ds_read_b32 v80, v10 offset:16896                          // 000000004AE0: D86C4200 5000000A
	ds_read_b32 v81, v10 offset:16960                          // 000000004AE8: D86C4240 5100000A
	ds_read_b32 v82, v10 offset:17024                          // 000000004AF0: D86C4280 5200000A
	ds_read_b32 v83, v10 offset:17088                          // 000000004AF8: D86C42C0 5300000A
	ds_read_b32 v84, v10 offset:17152                          // 000000004B00: D86C4300 5400000A
	ds_read_b32 v85, v10 offset:17216                          // 000000004B08: D86C4340 5500000A
	ds_read_b32 v86, v10 offset:17280                          // 000000004B10: D86C4380 5600000A
	ds_read_b32 v87, v10 offset:17344                          // 000000004B18: D86C43C0 5700000A
	ds_read_b32 v88, v10 offset:17408                          // 000000004B20: D86C4400 5800000A
	ds_read_b32 v89, v10 offset:17472                          // 000000004B28: D86C4440 5900000A
	ds_read_b32 v90, v10 offset:17536                          // 000000004B30: D86C4480 5A00000A
	ds_read_b32 v91, v10 offset:17600                          // 000000004B38: D86C44C0 5B00000A
	ds_read_b32 v92, v10 offset:17664                          // 000000004B40: D86C4500 5C00000A
	ds_read_b32 v93, v10 offset:17728                          // 000000004B48: D86C4540 5D00000A
	ds_read_b32 v94, v10 offset:17792                          // 000000004B50: D86C4580 5E00000A
	ds_read_b32 v95, v10 offset:17856                          // 000000004B58: D86C45C0 5F00000A
	v_mul_f32_e32 v224, v63, v224                              // 000000004B60: 0BC1C13F
	v_mul_f32_e32 v225, v63, v225                              // 000000004B64: 0BC3C33F
	v_mul_f32_e32 v226, v63, v226                              // 000000004B68: 0BC5C53F
	v_mul_f32_e32 v227, v63, v227                              // 000000004B6C: 0BC7C73F
	v_or_b32_dpp v192, v196, v192 row_shr:8 row_mask:0xf bank_mask:0xf bound_ctrl:1// 000000004B70: 298180FA FF0918C4
	v_or_b32_dpp v193, v197, v193 row_shr:8 row_mask:0xf bank_mask:0xf bound_ctrl:1// 000000004B78: 298382FA FF0918C5
	v_or_b32_dpp v194, v198, v194 row_shr:8 row_mask:0xf bank_mask:0xf bound_ctrl:1// 000000004B80: 298584FA FF0918C6
	v_or_b32_dpp v195, v199, v195 row_shr:8 row_mask:0xf bank_mask:0xf bound_ctrl:1// 000000004B88: 298786FA FF0918C7
	s_waitcnt lgkmcnt(0)                                       // 000000004B90: BF8CC07F
	v_max3_f32 v62, v80, v81, v62                              // 000000004B94: D1D3003E 04FAA350
	v_max3_f32 v62, v82, v83, v62                              // 000000004B9C: D1D3003E 04FAA752
	v_max3_f32 v62, v84, v85, v62                              // 000000004BA4: D1D3003E 04FAAB54
	v_max3_f32 v62, v86, v87, v62                              // 000000004BAC: D1D3003E 04FAAF56
	v_max3_f32 v62, v88, v89, v62                              // 000000004BB4: D1D3003E 04FAB358
	v_max3_f32 v62, v90, v91, v62                              // 000000004BBC: D1D3003E 04FAB75A
	v_max3_f32 v62, v92, v93, v62                              // 000000004BC4: D1D3003E 04FABB5C
	v_max3_f32 v62, v94, v95, v62                              // 000000004BCC: D1D3003E 04FABF5E
	v_cmp_eq_u32_e64 s[40:41], v69, v14                        // 000000004BD4: D0CA0028 00021D45
	s_nop 1                                                    // 000000004BDC: BF800001
	v_mov_b32_dpp v41, v62 row_ror:8 row_mask:0xf bank_mask:0xf// 000000004BE0: 7E5202FA FF01283E
	v_max_f32_e32 v62, v62, v41                                // 000000004BE8: 167C533E
	v_max_f32_e32 v18, v62, v14                                // 000000004BEC: 16241D3E
	v_mul_f32_e32 v67, s64, v18                                // 000000004BF0: 0A862440
	v_fma_f32 v128, v128, s64, -v67                            // 000000004BF4: D1CB0080 850C8180
	v_fma_f32 v129, v129, s64, -v67                            // 000000004BFC: D1CB0081 850C8181
	v_fma_f32 v130, v130, s64, -v67                            // 000000004C04: D1CB0082 850C8182
	v_fma_f32 v131, v131, s64, -v67                            // 000000004C0C: D1CB0083 850C8183
	v_fma_f32 v132, v132, s64, -v67                            // 000000004C14: D1CB0084 850C8184
	v_fma_f32 v133, v133, s64, -v67                            // 000000004C1C: D1CB0085 850C8185
	v_fma_f32 v134, v134, s64, -v67                            // 000000004C24: D1CB0086 850C8186
	v_fma_f32 v135, v135, s64, -v67                            // 000000004C2C: D1CB0087 850C8187
	v_exp_f32_e32 v128, v128                                   // 000000004C34: 7F004180
	v_exp_f32_e32 v129, v129                                   // 000000004C38: 7F024181
	v_exp_f32_e32 v130, v130                                   // 000000004C3C: 7F044182
	v_exp_f32_e32 v131, v131                                   // 000000004C40: 7F064183
	v_exp_f32_e32 v132, v132                                   // 000000004C44: 7F084184
	v_exp_f32_e32 v133, v133                                   // 000000004C48: 7F0A4185
	v_exp_f32_e32 v134, v134                                   // 000000004C4C: 7F0C4186
	v_exp_f32_e32 v135, v135                                   // 000000004C50: 7F0E4187
	v_mul_f32_dpp v240, v252, v128 quad_perm:[0,0,0,0] row_mask:0xf bank_mask:0xf// 000000004C54: 0BE100FA FF0000FC
	v_mul_f32_dpp v241, v252, v129 quad_perm:[1,1,1,1] row_mask:0xf bank_mask:0xf// 000000004C5C: 0BE302FA FF0055FC
	v_mul_f32_dpp v242, v252, v130 quad_perm:[2,2,2,2] row_mask:0xf bank_mask:0xf// 000000004C64: 0BE504FA FF00AAFC
	v_mul_f32_dpp v243, v252, v131 quad_perm:[3,3,3,3] row_mask:0xf bank_mask:0xf// 000000004C6C: 0BE706FA FF00FFFC
	v_mul_f32_dpp v244, v253, v132 quad_perm:[0,0,0,0] row_mask:0xf bank_mask:0xf// 000000004C74: 0BE908FA FF0000FD
	v_mul_f32_dpp v245, v253, v133 quad_perm:[1,1,1,1] row_mask:0xf bank_mask:0xf// 000000004C7C: 0BEB0AFA FF0055FD
	v_mul_f32_dpp v246, v253, v134 quad_perm:[2,2,2,2] row_mask:0xf bank_mask:0xf// 000000004C84: 0BED0CFA FF00AAFD
	v_mul_f32_dpp v247, v253, v135 quad_perm:[3,3,3,3] row_mask:0xf bank_mask:0xf// 000000004C8C: 0BEF0EFA FF00FFFD
	v_mov_b32_e32 v62, 0x358637bd                              // 000000004C94: 7E7C02FF 358637BD
	v_max3_f32 v62, |v240|, |v241|, v62                        // 000000004C9C: D1D3033E 04FBE3F0
	v_max3_f32 v62, |v242|, |v243|, v62                        // 000000004CA4: D1D3033E 04FBE7F2
	v_max3_f32 v62, |v244|, |v245|, v62                        // 000000004CAC: D1D3033E 04FBEBF4
	v_max3_f32 v62, |v246|, |v247|, v62                        // 000000004CB4: D1D3033E 04FBEFF6
	ds_write_b32 v11, v62 offset:20992                         // 000000004CBC: D81A5200 00003E0B
	v_sub_f32_e32 v63, v14, v18                                // 000000004CC4: 047E250E
	v_cndmask_b32_e64 v63, v63, 0, s[40:41]                    // 000000004CC8: D100003F 00A1013F
	v_mov_b32_e32 v14, v18                                     // 000000004CD0: 7E1C0312
	v_mul_f32_e32 v63, s64, v63                                // 000000004CD4: 0A7E7E40
	v_exp_f32_e32 v63, v63                                     // 000000004CD8: 7E7E413F
	s_waitcnt lgkmcnt(0)                                       // 000000004CDC: BF8CC07F
	s_barrier                                                  // 000000004CE0: BF8A0000
	ds_read_b32 v80, v10 offset:20992                          // 000000004CE4: D86C5200 5000000A
	ds_read_b32 v81, v10 offset:21056                          // 000000004CEC: D86C5240 5100000A
	ds_read_b32 v82, v10 offset:21120                          // 000000004CF4: D86C5280 5200000A
	ds_read_b32 v83, v10 offset:21184                          // 000000004CFC: D86C52C0 5300000A
	ds_read_b32 v84, v10 offset:21248                          // 000000004D04: D86C5300 5400000A
	ds_read_b32 v85, v10 offset:21312                          // 000000004D0C: D86C5340 5500000A
	ds_read_b32 v86, v10 offset:21376                          // 000000004D14: D86C5380 5600000A
	ds_read_b32 v87, v10 offset:21440                          // 000000004D1C: D86C53C0 5700000A
	ds_read_b32 v88, v10 offset:21504                          // 000000004D24: D86C5400 5800000A
	ds_read_b32 v89, v10 offset:21568                          // 000000004D2C: D86C5440 5900000A
	ds_read_b32 v90, v10 offset:21632                          // 000000004D34: D86C5480 5A00000A
	ds_read_b32 v91, v10 offset:21696                          // 000000004D3C: D86C54C0 5B00000A
	ds_read_b32 v92, v10 offset:21760                          // 000000004D44: D86C5500 5C00000A
	ds_read_b32 v93, v10 offset:21824                          // 000000004D4C: D86C5540 5D00000A
	ds_read_b32 v94, v10 offset:21888                          // 000000004D54: D86C5580 5E00000A
	ds_read_b32 v95, v10 offset:21952                          // 000000004D5C: D86C55C0 5F00000A
	v_mul_f32_e32 v47, v63, v47                                // 000000004D64: 0A5E5F3F
	v_mov_b32_e32 v51, v128                                    // 000000004D68: 7E660380
	v_add_f32_e32 v51, v129, v51                               // 000000004D6C: 02666781
	v_add_f32_e32 v51, v130, v51                               // 000000004D70: 02666782
	v_add_f32_e32 v51, v131, v51                               // 000000004D74: 02666783
	v_add_f32_e32 v51, v132, v51                               // 000000004D78: 02666784
	v_add_f32_e32 v51, v133, v51                               // 000000004D7C: 02666785
	v_add_f32_e32 v51, v134, v51                               // 000000004D80: 02666786
	v_add_f32_e32 v51, v135, v51                               // 000000004D84: 02666787
	v_add_f32_e32 v47, v51, v47                                // 000000004D88: 025E5F33
	s_waitcnt lgkmcnt(0)                                       // 000000004D8C: BF8CC07F
	v_max3_f32 v62, |v80|, |v81|, v62                          // 000000004D90: D1D3033E 04FAA350
	v_max3_f32 v62, |v82|, |v83|, v62                          // 000000004D98: D1D3033E 04FAA752
	v_max3_f32 v62, |v84|, |v85|, v62                          // 000000004DA0: D1D3033E 04FAAB54
	v_max3_f32 v62, |v86|, |v87|, v62                          // 000000004DA8: D1D3033E 04FAAF56
	v_max3_f32 v62, |v88|, |v89|, v62                          // 000000004DB0: D1D3033E 04FAB358
	v_max3_f32 v62, |v90|, |v91|, v62                          // 000000004DB8: D1D3033E 04FAB75A
	v_max3_f32 v62, |v92|, |v93|, v62                          // 000000004DC0: D1D3033E 04FABB5C
	v_max3_f32 v62, |v94|, |v95|, v62                          // 000000004DC8: D1D3033E 04FABF5E
	s_nop 2                                                    // 000000004DD0: BF800002
	v_mov_b32_dpp v41, v62 row_ror:8 row_mask:0xf bank_mask:0xf// 000000004DD4: 7E5202FA FF01283E
	v_max_f32_e32 v62, v62, v41                                // 000000004DDC: 167C533E
	v_rcp_f32_e32 v62, v62                                     // 000000004DE0: 7E7C453E
	s_nop 1                                                    // 000000004DE4: BF800001
	v_mul_f32_e32 v62, 0x43700000, v62                         // 000000004DE8: 0A7C7CFF 43700000
	v_mul_f32_e32 v128, v62, v240                              // 000000004DF0: 0B01E13E
	v_mul_f32_e32 v129, v62, v241                              // 000000004DF4: 0B03E33E
	v_mul_f32_e32 v130, v62, v242                              // 000000004DF8: 0B05E53E
	v_mul_f32_e32 v131, v62, v243                              // 000000004DFC: 0B07E73E
	v_mul_f32_e32 v132, v62, v244                              // 000000004E00: 0B09E93E
	v_mul_f32_e32 v133, v62, v245                              // 000000004E04: 0B0BEB3E
	v_mul_f32_e32 v134, v62, v246                              // 000000004E08: 0B0DED3E
	v_mul_f32_e32 v135, v62, v247                              // 000000004E0C: 0B0FEF3E
	v_cvt_pk_fp8_f32 v128, v128, v129                          // 000000004E10: D2A20080 00030380
	v_cvt_pk_fp8_f32 v128, v130, v131 op_sel:[0,0,1]           // 000000004E18: D2A24080 00030782
	v_cvt_pk_fp8_f32 v129, v132, v133                          // 000000004E20: D2A20081 00030B84
	v_cvt_pk_fp8_f32 v129, v134, v135 op_sel:[0,0,1]           // 000000004E28: D2A24081 00030F86
	ds_write_b32 v13, v128 offset:25088                        // 000000004E30: D81A6200 0000800D
	ds_write_b32 v13, v129 offset:26112                        // 000000004E38: D81A6600 0000810D
	v_mul_f32_e32 v192, v58, v192                              // 000000004E40: 0B81813A
	v_mul_f32_e32 v193, v58, v193                              // 000000004E44: 0B83833A
	v_mul_f32_e32 v194, v58, v194                              // 000000004E48: 0B85853A
	v_mul_f32_e32 v195, v58, v195                              // 000000004E4C: 0B87873A
	v_rcp_f32_e32 v58, v62                                     // 000000004E50: 7E74453E
	s_waitcnt lgkmcnt(0)                                       // 000000004E54: BF8CC07F
	s_barrier                                                  // 000000004E58: BF8A0000
	ds_read_b64 v[128:129], v12 offset:25088                   // 000000004E5C: D8EC6200 8000000C
	ds_read_b64 v[130:131], v12 offset:25216                   // 000000004E64: D8EC6280 8200000C
	ds_read_b64 v[132:133], v12 offset:26112                   // 000000004E6C: D8EC6600 8400000C
	ds_read_b64 v[134:135], v12 offset:26240                   // 000000004E74: D8EC6680 8600000C
	v_add_f32_e32 v224, v224, v192                             // 000000004E7C: 03C181E0
	v_add_f32_e32 v225, v225, v193                             // 000000004E80: 03C383E1
	v_add_f32_e32 v226, v226, v194                             // 000000004E84: 03C585E2
	v_add_f32_e32 v227, v227, v195                             // 000000004E88: 03C787E3
	s_waitcnt lgkmcnt(3)                                       // 000000004E8C: BF8CC37F
	v_mov_b32_dpp v136, v128 row_shl:8 row_mask:0xf bank_mask:0xf bound_ctrl:1// 000000004E90: 7F1002FA FF090880
	v_and_b32_e32 v128, v128, v9                               // 000000004E98: 27001380
	v_mov_b32_dpp v137, v129 row_shl:8 row_mask:0xf bank_mask:0xf bound_ctrl:1// 000000004E9C: 7F1202FA FF090881
	v_and_b32_e32 v129, v129, v9                               // 000000004EA4: 27021381
	s_waitcnt lgkmcnt(2)                                       // 000000004EA8: BF8CC27F
	v_mov_b32_dpp v138, v130 row_shl:8 row_mask:0xf bank_mask:0xf bound_ctrl:1// 000000004EAC: 7F1402FA FF090882
	v_and_b32_e32 v130, v130, v9                               // 000000004EB4: 27041382
	v_mov_b32_dpp v139, v131 row_shl:8 row_mask:0xf bank_mask:0xf bound_ctrl:1// 000000004EB8: 7F1602FA FF090883
	v_and_b32_e32 v131, v131, v9                               // 000000004EC0: 27061383
	s_waitcnt lgkmcnt(1)                                       // 000000004EC4: BF8CC17F
	v_mov_b32_dpp v140, v132 row_shl:8 row_mask:0xf bank_mask:0xf bound_ctrl:1// 000000004EC8: 7F1802FA FF090884
	v_and_b32_e32 v132, v132, v9                               // 000000004ED0: 27081384
	v_mov_b32_dpp v141, v133 row_shl:8 row_mask:0xf bank_mask:0xf bound_ctrl:1// 000000004ED4: 7F1A02FA FF090885
	v_and_b32_e32 v133, v133, v9                               // 000000004EDC: 270A1385
	s_waitcnt lgkmcnt(0)                                       // 000000004EE0: BF8CC07F
	v_mov_b32_dpp v142, v134 row_shl:8 row_mask:0xf bank_mask:0xf bound_ctrl:1// 000000004EE4: 7F1C02FA FF090886
	v_and_b32_e32 v134, v134, v9                               // 000000004EEC: 270C1386
	v_mov_b32_dpp v143, v135 row_shl:8 row_mask:0xf bank_mask:0xf bound_ctrl:1// 000000004EF0: 7F1E02FA FF090887
	v_and_b32_e32 v135, v135, v9                               // 000000004EF8: 270E1387
	s_waitcnt vmcnt(0)                                         // 000000004EFC: BF8C0F70
	s_barrier                                                  // 000000004F00: BF8A0000
	v_mfma_f32_16x16x32_fp8_fp8 v[192:195], a[64:65], v[128:129], 0// 000000004F04: D3F300C0 0A030140
	v_mfma_f32_16x16x32_fp8_fp8 v[192:195], a[66:67], v[130:131], v[192:195]// 000000004F0C: D3F300C0 0F030542
	v_mfma_f32_16x16x32_fp8_fp8 v[192:195], a[68:69], v[132:133], v[192:195]// 000000004F14: D3F300C0 0F030944
	v_mfma_f32_16x16x32_fp8_fp8 v[192:195], a[70:71], v[134:135], v[192:195]// 000000004F1C: D3F300C0 0F030D46
	v_mfma_f32_16x16x32_fp8_fp8 v[192:195], a[72:73], v[136:137], v[192:195]// 000000004F24: D3F300C0 0F031148
	v_mfma_f32_16x16x32_fp8_fp8 v[192:195], a[74:75], v[138:139], v[192:195]// 000000004F2C: D3F300C0 0F03154A
	v_mfma_f32_16x16x32_fp8_fp8 v[192:195], a[76:77], v[140:141], v[192:195]// 000000004F34: D3F300C0 0F03194C
	v_mfma_f32_16x16x32_fp8_fp8 v[192:195], a[78:79], v[142:143], v[192:195]// 000000004F3C: D3F300C0 0F031D4E
	v_mfma_f32_16x16x32_fp8_fp8 v[196:199], a[80:81], v[128:129], 0// 000000004F44: D3F300C4 0A030150
	v_mfma_f32_16x16x32_fp8_fp8 v[196:199], a[82:83], v[130:131], v[196:199]// 000000004F4C: D3F300C4 0F130552
	v_mfma_f32_16x16x32_fp8_fp8 v[196:199], a[84:85], v[132:133], v[196:199]// 000000004F54: D3F300C4 0F130954
	v_mfma_f32_16x16x32_fp8_fp8 v[196:199], a[86:87], v[134:135], v[196:199]// 000000004F5C: D3F300C4 0F130D56
	v_mfma_f32_16x16x32_fp8_fp8 v[196:199], a[88:89], v[136:137], v[196:199]// 000000004F64: D3F300C4 0F131158
	v_mfma_f32_16x16x32_fp8_fp8 v[196:199], a[90:91], v[138:139], v[196:199]// 000000004F6C: D3F300C4 0F13155A
	v_mfma_f32_16x16x32_fp8_fp8 v[196:199], a[92:93], v[140:141], v[196:199]// 000000004F74: D3F300C4 0F13195C
	v_mfma_f32_16x16x32_fp8_fp8 v[196:199], a[94:95], v[142:143], v[196:199]// 000000004F7C: D3F300C4 0F131D5E
	s_nop 4                                                    // 000000004F84: BF800004
	s_branch label_0D40                                        // 000000004F88: BF8201DD

0000000000004f8c <label_0B63>:
	s_waitcnt vmcnt(8) lgkmcnt(0)                              // 000000004F8C: BF8C0078
	s_barrier                                                  // 000000004F90: BF8A0000
	v_mfma_f32_16x16x32_fp8_fp8 v[128:131], a[32:33], v[96:97], 0// 000000004F94: D3F30080 0A02C120
	v_mfma_f32_16x16x32_fp8_fp8 v[128:131], a[34:35], v[98:99], v[128:131]// 000000004F9C: D3F30080 0E02C522
	v_mfma_f32_16x16x32_fp8_fp8 v[128:131], a[36:37], v[100:101], v[128:131]// 000000004FA4: D3F30080 0E02C924
	v_mfma_f32_16x16x32_fp8_fp8 v[128:131], a[38:39], v[102:103], v[128:131]// 000000004FAC: D3F30080 0E02CD26
	v_mfma_f32_16x16x32_fp8_fp8 v[132:135], a[40:41], v[96:97], 0// 000000004FB4: D3F30084 0A02C128
	v_mfma_f32_16x16x32_fp8_fp8 v[132:135], a[42:43], v[98:99], v[132:135]// 000000004FBC: D3F30084 0E12C52A
	v_mfma_f32_16x16x32_fp8_fp8 v[132:135], a[44:45], v[100:101], v[132:135]// 000000004FC4: D3F30084 0E12C92C
	v_mfma_f32_16x16x32_fp8_fp8 v[132:135], a[46:47], v[102:103], v[132:135]// 000000004FCC: D3F30084 0E12CD2E
	v_mfma_f32_16x16x32_fp8_fp8 v[136:139], a[48:49], v[96:97], 0// 000000004FD4: D3F30088 0A02C130
	v_mfma_f32_16x16x32_fp8_fp8 v[136:139], a[50:51], v[98:99], v[136:139]// 000000004FDC: D3F30088 0E22C532
	v_mfma_f32_16x16x32_fp8_fp8 v[136:139], a[52:53], v[100:101], v[136:139]// 000000004FE4: D3F30088 0E22C934
	v_mfma_f32_16x16x32_fp8_fp8 v[136:139], a[54:55], v[102:103], v[136:139]// 000000004FEC: D3F30088 0E22CD36
	v_mfma_f32_16x16x32_fp8_fp8 v[140:143], a[56:57], v[96:97], 0// 000000004FF4: D3F3008C 0A02C138
	v_mfma_f32_16x16x32_fp8_fp8 v[140:143], a[58:59], v[98:99], v[140:143]// 000000004FFC: D3F3008C 0E32C53A
	v_mfma_f32_16x16x32_fp8_fp8 v[140:143], a[60:61], v[100:101], v[140:143]// 000000005004: D3F3008C 0E32C93C
	v_mfma_f32_16x16x32_fp8_fp8 v[140:143], a[62:63], v[102:103], v[140:143]// 00000000500C: D3F3008C 0E32CD3E
	v_mov_b32_dpp v41, v53 row_shr:4 row_mask:0xf bank_mask:0xf// 000000005014: 7E5202FA FF011435
	v_mov_b32_dpp v42, v53 row_shl:4 row_mask:0xf bank_mask:0xf// 00000000501C: 7E5402FA FF010435
	v_cndmask_b32_e64 v248, v53, v41, s[44:45]                 // 000000005024: D10000F8 00B25335
	v_cndmask_b32_e64 v249, v42, v53, s[44:45]                 // 00000000502C: D10000F9 00B26B2A
	v_mov_b32_dpp v41, v73 row_shr:4 row_mask:0xf bank_mask:0xf// 000000005034: 7E5202FA FF011449
	v_mov_b32_dpp v42, v73 row_shl:4 row_mask:0xf bank_mask:0xf// 00000000503C: 7E5402FA FF010449
	v_cndmask_b32_e64 v252, v73, v41, s[44:45]                 // 000000005044: D10000FC 00B25349
	v_cndmask_b32_e64 v253, v42, v73, s[44:45]                 // 00000000504C: D10000FD 00B2932A
	v_or_b32_dpp v128, v136, v128 row_shr:8 row_mask:0xf bank_mask:0xf bound_ctrl:1// 000000005054: 290100FA FF091888
	v_or_b32_dpp v129, v137, v129 row_shr:8 row_mask:0xf bank_mask:0xf bound_ctrl:1// 00000000505C: 290302FA FF091889
	v_or_b32_dpp v130, v138, v130 row_shr:8 row_mask:0xf bank_mask:0xf bound_ctrl:1// 000000005064: 290504FA FF09188A
	v_or_b32_dpp v131, v139, v131 row_shr:8 row_mask:0xf bank_mask:0xf bound_ctrl:1// 00000000506C: 290706FA FF09188B
	v_or_b32_dpp v132, v140, v132 row_shr:8 row_mask:0xf bank_mask:0xf bound_ctrl:1// 000000005074: 290908FA FF09188C
	v_or_b32_dpp v133, v141, v133 row_shr:8 row_mask:0xf bank_mask:0xf bound_ctrl:1// 00000000507C: 290B0AFA FF09188D
	v_or_b32_dpp v134, v142, v134 row_shr:8 row_mask:0xf bank_mask:0xf bound_ctrl:1// 000000005084: 290D0CFA FF09188E
	v_or_b32_dpp v135, v143, v135 row_shr:8 row_mask:0xf bank_mask:0xf bound_ctrl:1// 00000000508C: 290F0EFA FF09188F
	v_mul_f32_e32 v128, v54, v128                              // 000000005094: 0B010136
	v_mul_f32_e32 v129, v54, v129                              // 000000005098: 0B030336
	v_mul_f32_e32 v130, v54, v130                              // 00000000509C: 0B050536
	v_mul_f32_e32 v131, v54, v131                              // 0000000050A0: 0B070736
	v_mul_f32_e32 v132, v54, v132                              // 0000000050A4: 0B090936
	v_mul_f32_e32 v133, v54, v133                              // 0000000050A8: 0B0B0B36
	v_mul_f32_e32 v134, v54, v134                              // 0000000050AC: 0B0D0D36
	v_mul_f32_e32 v135, v54, v135                              // 0000000050B0: 0B0F0F36
	v_mul_f32_dpp v128, v248, v128 quad_perm:[0,0,0,0] row_mask:0xf bank_mask:0xf// 0000000050B4: 0B0100FA FF0000F8
	v_mul_f32_dpp v129, v248, v129 quad_perm:[1,1,1,1] row_mask:0xf bank_mask:0xf// 0000000050BC: 0B0302FA FF0055F8
	v_mul_f32_dpp v130, v248, v130 quad_perm:[2,2,2,2] row_mask:0xf bank_mask:0xf// 0000000050C4: 0B0504FA FF00AAF8
	v_mul_f32_dpp v131, v248, v131 quad_perm:[3,3,3,3] row_mask:0xf bank_mask:0xf// 0000000050CC: 0B0706FA FF00FFF8
	v_mul_f32_dpp v132, v249, v132 quad_perm:[0,0,0,0] row_mask:0xf bank_mask:0xf// 0000000050D4: 0B0908FA FF0000F9
	v_mul_f32_dpp v133, v249, v133 quad_perm:[1,1,1,1] row_mask:0xf bank_mask:0xf// 0000000050DC: 0B0B0AFA FF0055F9
	v_mul_f32_dpp v134, v249, v134 quad_perm:[2,2,2,2] row_mask:0xf bank_mask:0xf// 0000000050E4: 0B0D0CFA FF00AAF9
	v_mul_f32_dpp v135, v249, v135 quad_perm:[3,3,3,3] row_mask:0xf bank_mask:0xf// 0000000050EC: 0B0F0EFA FF00FFF9
	s_and_b32 s60, s72, 0xff                                   // 0000000050F4: 863CFF48 000000FF
	v_mov_b32_e32 v79, s60                                     // 0000000050FC: 7E9E023C
	v_lshrrev_b32_e32 v240, 4, v0                              // 000000005100: 21E00084
	v_mul_i32_i24_e32 v240, 4, v240                            // 000000005104: 0DE1E084
	v_and_b32_e32 v41, 15, v0                                  // 000000005108: 2652008F
	v_lshrrev_b32_e32 v41, 3, v41                              // 00000000510C: 20525283
	v_mul_i32_i24_e32 v41, 0x80, v41                           // 000000005110: 0C5252FF 00000080
	v_add_u32_e32 v240, v41, v240                              // 000000005118: 69E1E129
	s_mul_i32 s60, s7, 16                                      // 00000000511C: 923C9007
	v_add_u32_e32 v240, s60, v240                              // 000000005120: 69E1E03C
	v_add_u32_e32 v241, 1, v240                                // 000000005124: 69E3E081
	v_add_u32_e32 v242, 2, v240                                // 000000005128: 69E5E082
	v_add_u32_e32 v243, 3, v240                                // 00000000512C: 69E7E083
	v_cmp_lt_u32_e64 s[40:41], v240, v79                       // 000000005130: D0C90028 00029FF0
	v_add_u32_e32 v240, 64, v240                               // 000000005138: 69E1E0C0
	s_nop 0                                                    // 00000000513C: BF800000
	v_cndmask_b32_e64 v128, v69, v128, s[40:41]                // 000000005140: D1000080 00A30145
	v_cmp_lt_u32_e64 s[40:41], v241, v79                       // 000000005148: D0C90028 00029FF1
	v_add_u32_e32 v241, 64, v241                               // 000000005150: 69E3E2C0
	s_nop 0                                                    // 000000005154: BF800000
	v_cndmask_b32_e64 v129, v69, v129, s[40:41]                // 000000005158: D1000081 00A30345
	v_cmp_lt_u32_e64 s[40:41], v242, v79                       // 000000005160: D0C90028 00029FF2
	v_add_u32_e32 v242, 64, v242                               // 000000005168: 69E5E4C0
	s_nop 0                                                    // 00000000516C: BF800000
	v_cndmask_b32_e64 v130, v69, v130, s[40:41]                // 000000005170: D1000082 00A30545
	v_cmp_lt_u32_e64 s[40:41], v243, v79                       // 000000005178: D0C90028 00029FF3
	v_add_u32_e32 v243, 64, v243                               // 000000005180: 69E7E6C0
	s_nop 0                                                    // 000000005184: BF800000
	v_cndmask_b32_e64 v131, v69, v131, s[40:41]                // 000000005188: D1000083 00A30745
	v_cmp_lt_u32_e64 s[40:41], v240, v79                       // 000000005190: D0C90028 00029FF0
	v_add_u32_e32 v240, 64, v240                               // 000000005198: 69E1E0C0
	s_nop 0                                                    // 00000000519C: BF800000
	v_cndmask_b32_e64 v132, v69, v132, s[40:41]                // 0000000051A0: D1000084 00A30945
	v_cmp_lt_u32_e64 s[40:41], v241, v79                       // 0000000051A8: D0C90028 00029FF1
	v_add_u32_e32 v241, 64, v241                               // 0000000051B0: 69E3E2C0
	s_nop 0                                                    // 0000000051B4: BF800000
	v_cndmask_b32_e64 v133, v69, v133, s[40:41]                // 0000000051B8: D1000085 00A30B45
	v_cmp_lt_u32_e64 s[40:41], v242, v79                       // 0000000051C0: D0C90028 00029FF2
	v_add_u32_e32 v242, 64, v242                               // 0000000051C8: 69E5E4C0
	s_nop 0                                                    // 0000000051CC: BF800000
	v_cndmask_b32_e64 v134, v69, v134, s[40:41]                // 0000000051D0: D1000086 00A30D45
	v_cmp_lt_u32_e64 s[40:41], v243, v79                       // 0000000051D8: D0C90028 00029FF3
	v_add_u32_e32 v243, 64, v243                               // 0000000051E0: 69E7E6C0
	s_nop 0                                                    // 0000000051E4: BF800000
	v_cndmask_b32_e64 v135, v69, v135, s[40:41]                // 0000000051E8: D1000087 00A30F45
	v_mov_b32_e32 v62, v128                                    // 0000000051F0: 7E7C0380
	v_max3_f32 v62, v128, v129, v62                            // 0000000051F4: D1D3003E 04FB0380
	v_max3_f32 v62, v130, v131, v62                            // 0000000051FC: D1D3003E 04FB0782
	v_max3_f32 v62, v132, v133, v62                            // 000000005204: D1D3003E 04FB0B84
	v_max3_f32 v62, v134, v135, v62                            // 00000000520C: D1D3003E 04FB0F86
	ds_write_b32 v11, v62 offset:16896                         // 000000005214: D81A4200 00003E0B
	v_mul_u32_u24_dpp v41, v19, v68 row_newbcast:1 row_mask:0xf bank_mask:0xf// 00000000521C: 105288FA FF015113
	v_mul_u32_u24_dpp v42, v19, v68 row_newbcast:5 row_mask:0xf bank_mask:0xf// 000000005224: 105488FA FF015513
	v_mul_u32_u24_dpp v43, v19, v68 row_newbcast:9 row_mask:0xf bank_mask:0xf// 00000000522C: 105688FA FF015913
	v_mul_u32_u24_dpp v44, v19, v68 row_newbcast:13 row_mask:0xf bank_mask:0xf// 000000005234: 105888FA FF015D13
	v_add_u32_e32 v33, v41, v7                                 // 00000000523C: 68420F29
	v_add_u32_e32 v34, v42, v7                                 // 000000005240: 68440F2A
	v_add_u32_e32 v35, v43, v7                                 // 000000005244: 68460F2B
	v_add_u32_e32 v36, v44, v7                                 // 000000005248: 68480F2C
	s_waitcnt lgkmcnt(0)                                       // 00000000524C: BF8CC07F
	s_barrier                                                  // 000000005250: BF8A0000
	ds_read_b32 v80, v10 offset:16896                          // 000000005254: D86C4200 5000000A
	ds_read_b32 v81, v10 offset:16960                          // 00000000525C: D86C4240 5100000A
	ds_read_b32 v82, v10 offset:17024                          // 000000005264: D86C4280 5200000A
	ds_read_b32 v83, v10 offset:17088                          // 00000000526C: D86C42C0 5300000A
	ds_read_b32 v84, v10 offset:17152                          // 000000005274: D86C4300 5400000A
	ds_read_b32 v85, v10 offset:17216                          // 00000000527C: D86C4340 5500000A
	ds_read_b32 v86, v10 offset:17280                          // 000000005284: D86C4380 5600000A
	ds_read_b32 v87, v10 offset:17344                          // 00000000528C: D86C43C0 5700000A
	ds_read_b32 v88, v10 offset:17408                          // 000000005294: D86C4400 5800000A
	ds_read_b32 v89, v10 offset:17472                          // 00000000529C: D86C4440 5900000A
	ds_read_b32 v90, v10 offset:17536                          // 0000000052A4: D86C4480 5A00000A
	ds_read_b32 v91, v10 offset:17600                          // 0000000052AC: D86C44C0 5B00000A
	ds_read_b32 v92, v10 offset:17664                          // 0000000052B4: D86C4500 5C00000A
	ds_read_b32 v93, v10 offset:17728                          // 0000000052BC: D86C4540 5D00000A
	ds_read_b32 v94, v10 offset:17792                          // 0000000052C4: D86C4580 5E00000A
	ds_read_b32 v95, v10 offset:17856                          // 0000000052CC: D86C45C0 5F00000A
	v_mul_f32_e32 v224, v63, v224                              // 0000000052D4: 0BC1C13F
	v_mul_f32_e32 v225, v63, v225                              // 0000000052D8: 0BC3C33F
	v_mul_f32_e32 v226, v63, v226                              // 0000000052DC: 0BC5C53F
	v_mul_f32_e32 v227, v63, v227                              // 0000000052E0: 0BC7C73F
	v_or_b32_dpp v192, v196, v192 row_shr:8 row_mask:0xf bank_mask:0xf bound_ctrl:1// 0000000052E4: 298180FA FF0918C4
	v_or_b32_dpp v193, v197, v193 row_shr:8 row_mask:0xf bank_mask:0xf bound_ctrl:1// 0000000052EC: 298382FA FF0918C5
	v_or_b32_dpp v194, v198, v194 row_shr:8 row_mask:0xf bank_mask:0xf bound_ctrl:1// 0000000052F4: 298584FA FF0918C6
	v_or_b32_dpp v195, v199, v195 row_shr:8 row_mask:0xf bank_mask:0xf bound_ctrl:1// 0000000052FC: 298786FA FF0918C7
	s_waitcnt lgkmcnt(0)                                       // 000000005304: BF8CC07F
	v_max3_f32 v62, v80, v81, v62                              // 000000005308: D1D3003E 04FAA350
	v_max3_f32 v62, v82, v83, v62                              // 000000005310: D1D3003E 04FAA752
	v_max3_f32 v62, v84, v85, v62                              // 000000005318: D1D3003E 04FAAB54
	v_max3_f32 v62, v86, v87, v62                              // 000000005320: D1D3003E 04FAAF56
	v_max3_f32 v62, v88, v89, v62                              // 000000005328: D1D3003E 04FAB358
	v_max3_f32 v62, v90, v91, v62                              // 000000005330: D1D3003E 04FAB75A
	v_max3_f32 v62, v92, v93, v62                              // 000000005338: D1D3003E 04FABB5C
	v_max3_f32 v62, v94, v95, v62                              // 000000005340: D1D3003E 04FABF5E
	v_cmp_eq_u32_e64 s[40:41], v69, v14                        // 000000005348: D0CA0028 00021D45
	s_nop 1                                                    // 000000005350: BF800001
	v_mov_b32_dpp v41, v62 row_ror:8 row_mask:0xf bank_mask:0xf// 000000005354: 7E5202FA FF01283E
	v_max_f32_e32 v62, v62, v41                                // 00000000535C: 167C533E
	v_max_f32_e32 v18, v62, v14                                // 000000005360: 16241D3E
	v_mul_f32_e32 v67, s64, v18                                // 000000005364: 0A862440
	v_fma_f32 v128, v128, s64, -v67                            // 000000005368: D1CB0080 850C8180
	v_fma_f32 v129, v129, s64, -v67                            // 000000005370: D1CB0081 850C8181
	v_fma_f32 v130, v130, s64, -v67                            // 000000005378: D1CB0082 850C8182
	v_fma_f32 v131, v131, s64, -v67                            // 000000005380: D1CB0083 850C8183
	v_fma_f32 v132, v132, s64, -v67                            // 000000005388: D1CB0084 850C8184
	v_fma_f32 v133, v133, s64, -v67                            // 000000005390: D1CB0085 850C8185
	v_fma_f32 v134, v134, s64, -v67                            // 000000005398: D1CB0086 850C8186
	v_fma_f32 v135, v135, s64, -v67                            // 0000000053A0: D1CB0087 850C8187
	v_exp_f32_e32 v128, v128                                   // 0000000053A8: 7F004180
	v_exp_f32_e32 v129, v129                                   // 0000000053AC: 7F024181
	v_exp_f32_e32 v130, v130                                   // 0000000053B0: 7F044182
	v_exp_f32_e32 v131, v131                                   // 0000000053B4: 7F064183
	v_exp_f32_e32 v132, v132                                   // 0000000053B8: 7F084184
	v_exp_f32_e32 v133, v133                                   // 0000000053BC: 7F0A4185
	v_exp_f32_e32 v134, v134                                   // 0000000053C0: 7F0C4186
	v_exp_f32_e32 v135, v135                                   // 0000000053C4: 7F0E4187
	v_mul_f32_dpp v240, v252, v128 quad_perm:[0,0,0,0] row_mask:0xf bank_mask:0xf// 0000000053C8: 0BE100FA FF0000FC
	v_mul_f32_dpp v241, v252, v129 quad_perm:[1,1,1,1] row_mask:0xf bank_mask:0xf// 0000000053D0: 0BE302FA FF0055FC
	v_mul_f32_dpp v242, v252, v130 quad_perm:[2,2,2,2] row_mask:0xf bank_mask:0xf// 0000000053D8: 0BE504FA FF00AAFC
	v_mul_f32_dpp v243, v252, v131 quad_perm:[3,3,3,3] row_mask:0xf bank_mask:0xf// 0000000053E0: 0BE706FA FF00FFFC
	v_mul_f32_dpp v244, v253, v132 quad_perm:[0,0,0,0] row_mask:0xf bank_mask:0xf// 0000000053E8: 0BE908FA FF0000FD
	v_mul_f32_dpp v245, v253, v133 quad_perm:[1,1,1,1] row_mask:0xf bank_mask:0xf// 0000000053F0: 0BEB0AFA FF0055FD
	v_mul_f32_dpp v246, v253, v134 quad_perm:[2,2,2,2] row_mask:0xf bank_mask:0xf// 0000000053F8: 0BED0CFA FF00AAFD
	v_mul_f32_dpp v247, v253, v135 quad_perm:[3,3,3,3] row_mask:0xf bank_mask:0xf// 000000005400: 0BEF0EFA FF00FFFD
	v_mov_b32_e32 v62, 0x358637bd                              // 000000005408: 7E7C02FF 358637BD
	v_max3_f32 v62, |v240|, |v241|, v62                        // 000000005410: D1D3033E 04FBE3F0
	v_max3_f32 v62, |v242|, |v243|, v62                        // 000000005418: D1D3033E 04FBE7F2
	v_max3_f32 v62, |v244|, |v245|, v62                        // 000000005420: D1D3033E 04FBEBF4
	v_max3_f32 v62, |v246|, |v247|, v62                        // 000000005428: D1D3033E 04FBEFF6
	ds_write_b32 v11, v62 offset:20992                         // 000000005430: D81A5200 00003E0B
	v_sub_f32_e32 v63, v14, v18                                // 000000005438: 047E250E
	v_cndmask_b32_e64 v63, v63, 0, s[40:41]                    // 00000000543C: D100003F 00A1013F
	v_mov_b32_e32 v14, v18                                     // 000000005444: 7E1C0312
	v_mul_f32_e32 v63, s64, v63                                // 000000005448: 0A7E7E40
	v_exp_f32_e32 v63, v63                                     // 00000000544C: 7E7E413F
	s_waitcnt lgkmcnt(0)                                       // 000000005450: BF8CC07F
	s_barrier                                                  // 000000005454: BF8A0000
	ds_read_b32 v80, v10 offset:20992                          // 000000005458: D86C5200 5000000A
	ds_read_b32 v81, v10 offset:21056                          // 000000005460: D86C5240 5100000A
	ds_read_b32 v82, v10 offset:21120                          // 000000005468: D86C5280 5200000A
	ds_read_b32 v83, v10 offset:21184                          // 000000005470: D86C52C0 5300000A
	ds_read_b32 v84, v10 offset:21248                          // 000000005478: D86C5300 5400000A
	ds_read_b32 v85, v10 offset:21312                          // 000000005480: D86C5340 5500000A
	ds_read_b32 v86, v10 offset:21376                          // 000000005488: D86C5380 5600000A
	ds_read_b32 v87, v10 offset:21440                          // 000000005490: D86C53C0 5700000A
	ds_read_b32 v88, v10 offset:21504                          // 000000005498: D86C5400 5800000A
	ds_read_b32 v89, v10 offset:21568                          // 0000000054A0: D86C5440 5900000A
	ds_read_b32 v90, v10 offset:21632                          // 0000000054A8: D86C5480 5A00000A
	ds_read_b32 v91, v10 offset:21696                          // 0000000054B0: D86C54C0 5B00000A
	ds_read_b32 v92, v10 offset:21760                          // 0000000054B8: D86C5500 5C00000A
	ds_read_b32 v93, v10 offset:21824                          // 0000000054C0: D86C5540 5D00000A
	ds_read_b32 v94, v10 offset:21888                          // 0000000054C8: D86C5580 5E00000A
	ds_read_b32 v95, v10 offset:21952                          // 0000000054D0: D86C55C0 5F00000A
	v_mul_f32_e32 v47, v63, v47                                // 0000000054D8: 0A5E5F3F
	v_mov_b32_e32 v51, v128                                    // 0000000054DC: 7E660380
	v_add_f32_e32 v51, v129, v51                               // 0000000054E0: 02666781
	v_add_f32_e32 v51, v130, v51                               // 0000000054E4: 02666782
	v_add_f32_e32 v51, v131, v51                               // 0000000054E8: 02666783
	v_add_f32_e32 v51, v132, v51                               // 0000000054EC: 02666784
	v_add_f32_e32 v51, v133, v51                               // 0000000054F0: 02666785
	v_add_f32_e32 v51, v134, v51                               // 0000000054F4: 02666786
	v_add_f32_e32 v51, v135, v51                               // 0000000054F8: 02666787
	v_add_f32_e32 v47, v51, v47                                // 0000000054FC: 025E5F33
	s_waitcnt lgkmcnt(0)                                       // 000000005500: BF8CC07F
	v_max3_f32 v62, |v80|, |v81|, v62                          // 000000005504: D1D3033E 04FAA350
	v_max3_f32 v62, |v82|, |v83|, v62                          // 00000000550C: D1D3033E 04FAA752
	v_max3_f32 v62, |v84|, |v85|, v62                          // 000000005514: D1D3033E 04FAAB54
	v_max3_f32 v62, |v86|, |v87|, v62                          // 00000000551C: D1D3033E 04FAAF56
	v_max3_f32 v62, |v88|, |v89|, v62                          // 000000005524: D1D3033E 04FAB358
	v_max3_f32 v62, |v90|, |v91|, v62                          // 00000000552C: D1D3033E 04FAB75A
	v_max3_f32 v62, |v92|, |v93|, v62                          // 000000005534: D1D3033E 04FABB5C
	v_max3_f32 v62, |v94|, |v95|, v62                          // 00000000553C: D1D3033E 04FABF5E
	s_nop 2                                                    // 000000005544: BF800002
	v_mov_b32_dpp v41, v62 row_ror:8 row_mask:0xf bank_mask:0xf// 000000005548: 7E5202FA FF01283E
	v_max_f32_e32 v62, v62, v41                                // 000000005550: 167C533E
	v_rcp_f32_e32 v62, v62                                     // 000000005554: 7E7C453E
	s_nop 1                                                    // 000000005558: BF800001
	v_mul_f32_e32 v62, 0x43700000, v62                         // 00000000555C: 0A7C7CFF 43700000
	v_mul_f32_e32 v128, v62, v240                              // 000000005564: 0B01E13E
	v_mul_f32_e32 v129, v62, v241                              // 000000005568: 0B03E33E
	v_mul_f32_e32 v130, v62, v242                              // 00000000556C: 0B05E53E
	v_mul_f32_e32 v131, v62, v243                              // 000000005570: 0B07E73E
	v_mul_f32_e32 v132, v62, v244                              // 000000005574: 0B09E93E
	v_mul_f32_e32 v133, v62, v245                              // 000000005578: 0B0BEB3E
	v_mul_f32_e32 v134, v62, v246                              // 00000000557C: 0B0DED3E
	v_mul_f32_e32 v135, v62, v247                              // 000000005580: 0B0FEF3E
	v_cvt_pk_fp8_f32 v128, v128, v129                          // 000000005584: D2A20080 00030380
	v_cvt_pk_fp8_f32 v128, v130, v131 op_sel:[0,0,1]           // 00000000558C: D2A24080 00030782
	v_cvt_pk_fp8_f32 v129, v132, v133                          // 000000005594: D2A20081 00030B84
	v_cvt_pk_fp8_f32 v129, v134, v135 op_sel:[0,0,1]           // 00000000559C: D2A24081 00030F86
	ds_write_b32 v13, v128 offset:25088                        // 0000000055A4: D81A6200 0000800D
	ds_write_b32 v13, v129 offset:26112                        // 0000000055AC: D81A6600 0000810D
	v_mul_f32_e32 v192, v58, v192                              // 0000000055B4: 0B81813A
	v_mul_f32_e32 v193, v58, v193                              // 0000000055B8: 0B83833A
	v_mul_f32_e32 v194, v58, v194                              // 0000000055BC: 0B85853A
	v_mul_f32_e32 v195, v58, v195                              // 0000000055C0: 0B87873A
	v_rcp_f32_e32 v58, v62                                     // 0000000055C4: 7E74453E
	s_waitcnt lgkmcnt(0)                                       // 0000000055C8: BF8CC07F
	s_barrier                                                  // 0000000055CC: BF8A0000
	ds_read_b64 v[128:129], v12 offset:25088                   // 0000000055D0: D8EC6200 8000000C
	ds_read_b64 v[130:131], v12 offset:25216                   // 0000000055D8: D8EC6280 8200000C
	ds_read_b64 v[132:133], v12 offset:26112                   // 0000000055E0: D8EC6600 8400000C
	ds_read_b64 v[134:135], v12 offset:26240                   // 0000000055E8: D8EC6680 8600000C
	v_add_f32_e32 v224, v224, v192                             // 0000000055F0: 03C181E0
	v_add_f32_e32 v225, v225, v193                             // 0000000055F4: 03C383E1
	v_add_f32_e32 v226, v226, v194                             // 0000000055F8: 03C585E2
	v_add_f32_e32 v227, v227, v195                             // 0000000055FC: 03C787E3
	s_waitcnt lgkmcnt(3)                                       // 000000005600: BF8CC37F
	v_mov_b32_dpp v136, v128 row_shl:8 row_mask:0xf bank_mask:0xf bound_ctrl:1// 000000005604: 7F1002FA FF090880
	v_and_b32_e32 v128, v128, v9                               // 00000000560C: 27001380
	v_mov_b32_dpp v137, v129 row_shl:8 row_mask:0xf bank_mask:0xf bound_ctrl:1// 000000005610: 7F1202FA FF090881
	v_and_b32_e32 v129, v129, v9                               // 000000005618: 27021381
	s_waitcnt lgkmcnt(2)                                       // 00000000561C: BF8CC27F
	v_mov_b32_dpp v138, v130 row_shl:8 row_mask:0xf bank_mask:0xf bound_ctrl:1// 000000005620: 7F1402FA FF090882
	v_and_b32_e32 v130, v130, v9                               // 000000005628: 27041382
	v_mov_b32_dpp v139, v131 row_shl:8 row_mask:0xf bank_mask:0xf bound_ctrl:1// 00000000562C: 7F1602FA FF090883
	v_and_b32_e32 v131, v131, v9                               // 000000005634: 27061383
	s_waitcnt lgkmcnt(1)                                       // 000000005638: BF8CC17F
	v_mov_b32_dpp v140, v132 row_shl:8 row_mask:0xf bank_mask:0xf bound_ctrl:1// 00000000563C: 7F1802FA FF090884
	v_and_b32_e32 v132, v132, v9                               // 000000005644: 27081384
	v_mov_b32_dpp v141, v133 row_shl:8 row_mask:0xf bank_mask:0xf bound_ctrl:1// 000000005648: 7F1A02FA FF090885
	v_and_b32_e32 v133, v133, v9                               // 000000005650: 270A1385
	s_waitcnt lgkmcnt(0)                                       // 000000005654: BF8CC07F
	v_mov_b32_dpp v142, v134 row_shl:8 row_mask:0xf bank_mask:0xf bound_ctrl:1// 000000005658: 7F1C02FA FF090886
	v_and_b32_e32 v134, v134, v9                               // 000000005660: 270C1386
	v_mov_b32_dpp v143, v135 row_shl:8 row_mask:0xf bank_mask:0xf bound_ctrl:1// 000000005664: 7F1E02FA FF090887
	v_and_b32_e32 v135, v135, v9                               // 00000000566C: 270E1387
	s_waitcnt vmcnt(0)                                         // 000000005670: BF8C0F70
	s_barrier                                                  // 000000005674: BF8A0000
	v_mfma_f32_16x16x32_fp8_fp8 v[192:195], a[96:97], v[128:129], 0// 000000005678: D3F300C0 0A030160
	v_mfma_f32_16x16x32_fp8_fp8 v[192:195], a[98:99], v[130:131], v[192:195]// 000000005680: D3F300C0 0F030562
	v_mfma_f32_16x16x32_fp8_fp8 v[192:195], a[100:101], v[132:133], v[192:195]// 000000005688: D3F300C0 0F030964
	v_mfma_f32_16x16x32_fp8_fp8 v[192:195], a[102:103], v[134:135], v[192:195]// 000000005690: D3F300C0 0F030D66
	v_mfma_f32_16x16x32_fp8_fp8 v[192:195], a[104:105], v[136:137], v[192:195]// 000000005698: D3F300C0 0F031168
	v_mfma_f32_16x16x32_fp8_fp8 v[192:195], a[106:107], v[138:139], v[192:195]// 0000000056A0: D3F300C0 0F03156A
	v_mfma_f32_16x16x32_fp8_fp8 v[192:195], a[108:109], v[140:141], v[192:195]// 0000000056A8: D3F300C0 0F03196C
	v_mfma_f32_16x16x32_fp8_fp8 v[192:195], a[110:111], v[142:143], v[192:195]// 0000000056B0: D3F300C0 0F031D6E
	v_mfma_f32_16x16x32_fp8_fp8 v[196:199], a[112:113], v[128:129], 0// 0000000056B8: D3F300C4 0A030170
	v_mfma_f32_16x16x32_fp8_fp8 v[196:199], a[114:115], v[130:131], v[196:199]// 0000000056C0: D3F300C4 0F130572
	v_mfma_f32_16x16x32_fp8_fp8 v[196:199], a[116:117], v[132:133], v[196:199]// 0000000056C8: D3F300C4 0F130974
	v_mfma_f32_16x16x32_fp8_fp8 v[196:199], a[118:119], v[134:135], v[196:199]// 0000000056D0: D3F300C4 0F130D76
	v_mfma_f32_16x16x32_fp8_fp8 v[196:199], a[120:121], v[136:137], v[196:199]// 0000000056D8: D3F300C4 0F131178
	v_mfma_f32_16x16x32_fp8_fp8 v[196:199], a[122:123], v[138:139], v[196:199]// 0000000056E0: D3F300C4 0F13157A
	v_mfma_f32_16x16x32_fp8_fp8 v[196:199], a[124:125], v[140:141], v[196:199]// 0000000056E8: D3F300C4 0F13197C
	v_mfma_f32_16x16x32_fp8_fp8 v[196:199], a[126:127], v[142:143], v[196:199]// 0000000056F0: D3F300C4 0F131D7E
	s_nop 4                                                    // 0000000056F8: BF800004
	s_branch label_0D40                                        // 0000000056FC: BF820000

0000000000005700 <label_0D40>:
	v_mul_f32_e32 v224, v63, v224                              // 000000005700: 0BC1C13F
	v_mul_f32_e32 v225, v63, v225                              // 000000005704: 0BC3C33F
	v_mul_f32_e32 v226, v63, v226                              // 000000005708: 0BC5C53F
	v_mul_f32_e32 v227, v63, v227                              // 00000000570C: 0BC7C73F
	v_or_b32_dpp v192, v196, v192 row_shr:8 row_mask:0xf bank_mask:0xf bound_ctrl:1// 000000005710: 298180FA FF0918C4
	v_or_b32_dpp v193, v197, v193 row_shr:8 row_mask:0xf bank_mask:0xf bound_ctrl:1// 000000005718: 298382FA FF0918C5
	v_or_b32_dpp v194, v198, v194 row_shr:8 row_mask:0xf bank_mask:0xf bound_ctrl:1// 000000005720: 298584FA FF0918C6
	v_or_b32_dpp v195, v199, v195 row_shr:8 row_mask:0xf bank_mask:0xf bound_ctrl:1// 000000005728: 298786FA FF0918C7
	v_mul_f32_e32 v192, v58, v192                              // 000000005730: 0B81813A
	v_mul_f32_e32 v193, v58, v193                              // 000000005734: 0B83833A
	v_mul_f32_e32 v194, v58, v194                              // 000000005738: 0B85853A
	v_mul_f32_e32 v195, v58, v195                              // 00000000573C: 0B87873A
	v_add_f32_e32 v224, v224, v192                             // 000000005740: 03C181E0
	v_add_f32_e32 v225, v225, v193                             // 000000005744: 03C383E1
	v_add_f32_e32 v226, v226, v194                             // 000000005748: 03C585E2
	v_add_f32_e32 v227, v227, v195                             // 00000000574C: 03C787E3
	ds_write_b32 v11, v47 offset:16896                         // 000000005750: D81A4200 00002F0B
	s_waitcnt lgkmcnt(0)                                       // 000000005758: BF8CC07F
	s_barrier                                                  // 00000000575C: BF8A0000
	ds_read_b32 v80, v10 offset:16896                          // 000000005760: D86C4200 5000000A
	ds_read_b32 v81, v10 offset:16960                          // 000000005768: D86C4240 5100000A
	ds_read_b32 v82, v10 offset:17024                          // 000000005770: D86C4280 5200000A
	ds_read_b32 v83, v10 offset:17088                          // 000000005778: D86C42C0 5300000A
	ds_read_b32 v84, v10 offset:17152                          // 000000005780: D86C4300 5400000A
	ds_read_b32 v85, v10 offset:17216                          // 000000005788: D86C4340 5500000A
	ds_read_b32 v86, v10 offset:17280                          // 000000005790: D86C4380 5600000A
	ds_read_b32 v87, v10 offset:17344                          // 000000005798: D86C43C0 5700000A
	ds_read_b32 v88, v10 offset:17408                          // 0000000057A0: D86C4400 5800000A
	ds_read_b32 v89, v10 offset:17472                          // 0000000057A8: D86C4440 5900000A
	ds_read_b32 v90, v10 offset:17536                          // 0000000057B0: D86C4480 5A00000A
	ds_read_b32 v91, v10 offset:17600                          // 0000000057B8: D86C44C0 5B00000A
	ds_read_b32 v92, v10 offset:17664                          // 0000000057C0: D86C4500 5C00000A
	ds_read_b32 v93, v10 offset:17728                          // 0000000057C8: D86C4540 5D00000A
	ds_read_b32 v94, v10 offset:17792                          // 0000000057D0: D86C4580 5E00000A
	ds_read_b32 v95, v10 offset:17856                          // 0000000057D8: D86C45C0 5F00000A
	s_waitcnt lgkmcnt(0)                                       // 0000000057E0: BF8CC07F
	v_mov_b32_e32 v47, 0                                       // 0000000057E4: 7E5E0280
	v_add_f32_e32 v47, v80, v47                                // 0000000057E8: 025E5F50
	v_add_f32_e32 v47, v81, v47                                // 0000000057EC: 025E5F51
	v_add_f32_e32 v47, v82, v47                                // 0000000057F0: 025E5F52
	v_add_f32_e32 v47, v83, v47                                // 0000000057F4: 025E5F53
	v_add_f32_e32 v47, v84, v47                                // 0000000057F8: 025E5F54
	v_add_f32_e32 v47, v85, v47                                // 0000000057FC: 025E5F55
	v_add_f32_e32 v47, v86, v47                                // 000000005800: 025E5F56
	v_add_f32_e32 v47, v87, v47                                // 000000005804: 025E5F57
	v_add_f32_e32 v47, v88, v47                                // 000000005808: 025E5F58
	v_add_f32_e32 v47, v89, v47                                // 00000000580C: 025E5F59
	v_add_f32_e32 v47, v90, v47                                // 000000005810: 025E5F5A
	v_add_f32_e32 v47, v91, v47                                // 000000005814: 025E5F5B
	v_add_f32_e32 v47, v92, v47                                // 000000005818: 025E5F5C
	v_add_f32_e32 v47, v93, v47                                // 00000000581C: 025E5F5D
	v_add_f32_e32 v47, v94, v47                                // 000000005820: 025E5F5E
	v_add_f32_e32 v47, v95, v47                                // 000000005824: 025E5F5F
	s_nop 1                                                    // 000000005828: BF800001
	v_mov_b32_dpp v41, v47 row_ror:8 row_mask:0xf bank_mask:0xf// 00000000582C: 7E5202FA FF01282F
	v_add_f32_e32 v47, v47, v41                                // 000000005834: 025E532F
	v_rcp_f32_e32 v47, v47                                     // 000000005838: 7E5E452F
	s_nop 1                                                    // 00000000583C: BF800001
	v_mul_f32_e32 v224, v47, v224                              // 000000005840: 0BC1C12F
	v_mul_f32_e32 v225, v47, v225                              // 000000005844: 0BC3C32F
	v_mul_f32_e32 v226, v47, v226                              // 000000005848: 0BC5C52F
	v_mul_f32_e32 v227, v47, v227                              // 00000000584C: 0BC7C72F
	v_cvt_pkrtz_f16_f32 v41, v224, v225                        // 000000005850: D2960029 0003C3E0
	v_mov_b32_e32 v224, v41                                    // 000000005858: 7FC00329
	v_cvt_pkrtz_f16_f32 v41, v226, v227                        // 00000000585C: D2960029 0003C7E2
	v_mov_b32_e32 v225, v41                                    // 000000005864: 7FC20329
	s_nop 1                                                    // 000000005868: BF800001
	v_mov_b32_dpp v226, v224 row_shl:8 row_mask:0xf bank_mask:0xf bound_ctrl:1// 00000000586C: 7FC402FA FF0908E0
	v_and_b32_e32 v224, v224, v9                               // 000000005874: 27C013E0
	v_mov_b32_dpp v227, v225 row_shl:8 row_mask:0xf bank_mask:0xf bound_ctrl:1// 000000005878: 7FC602FA FF0908E1
	v_and_b32_e32 v225, v225, v9                               // 000000005880: 27C213E1
	v_lshrrev_b32_e32 v41, 4, v0                               // 000000005884: 20520084
	v_mul_i32_i24_e32 v5, 34, v41                              // 000000005888: 0C0A52A2
	v_and_b32_e32 v41, 15, v0                                  // 00000000588C: 2652008F
	v_mul_i32_i24_e32 v42, 2, v41                              // 000000005890: 0C545282
	v_add_u32_e32 v5, v42, v5                                  // 000000005894: 680A0B2A
	s_mul_i32 s60, s7, 0x88                                    // 000000005898: 923CFF07 00000088
	v_add_u32_e32 v5, s60, v5                                  // 0000000058A0: 680A0A3C
	v_lshlrev_b32_e32 v5, 2, v5                                // 0000000058A4: 240A0A82
	ds_write_b64 v5, v[224:225] offset:41472                   // 0000000058A8: D89AA200 0000E005
	ds_write_b64 v5, v[226:227] offset:43648                   // 0000000058B0: D89AAA80 0000E205
	v_lshrrev_b32_e32 v41, 1, v0                               // 0000000058B8: 20520081
	v_mul_i32_i24_e32 v5, 34, v41                              // 0000000058BC: 0C0A52A2
	v_and_b32_e32 v42, 1, v0                                   // 0000000058C0: 26540081
	v_add_u32_e32 v5, v42, v5                                  // 0000000058C4: 680A0B2A
	s_mul_i32 s60, s7, 2                                       // 0000000058C8: 923C8207
	v_add_u32_e32 v5, s60, v5                                  // 0000000058CC: 680A0A3C
	v_lshlrev_b32_e32 v5, 2, v5                                // 0000000058D0: 240A0A82
	s_waitcnt lgkmcnt(0)                                       // 0000000058D4: BF8CC07F
	s_barrier                                                  // 0000000058D8: BF8A0000
	ds_read_b32 v224, v5 offset:41472                          // 0000000058DC: D86CA200 E0000005
	ds_read_b32 v225, v5 offset:41504                          // 0000000058E4: D86CA220 E1000005
	s_waitcnt lgkmcnt(0)                                       // 0000000058EC: BF8CC07F
	buffer_store_dword v224, v8, s[8:11], 0 offen              // 0000000058F0: E0701000 8002E008
	buffer_store_dword v225, v8, s[8:11], 0 offen offset:1024  // 0000000058F8: E0701400 8002E108
	s_mul_i32 s60, 0x100, s77                                  // 000000005900: 923C4DFF 00000100
	s_add_u32 s8, s60, s8                                      // 000000005908: 8008083C
	s_addc_u32 s9, 0, s9                                       // 00000000590C: 82090980
	s_branch label_3D58                                        // 000000005910: BF822F93

0000000000005914 <label_0DC5>:
	s_mul_i32 s60, s3, s65                                     // 000000005914: 923C4103
	s_mul_i32 s60, s60, 4                                      // 000000005918: 923C843C
	s_add_u32 s24, s60, s24                                    // 00000000591C: 8018183C
	s_addc_u32 s25, 0, s25                                     // 000000005920: 82191980
	s_mov_b32 s56, 64                                          // 000000005924: BEB800C0
	s_add_u32 s73, s72, 15                                     // 000000005928: 80498F48
	s_lshr_b32 s73, s73, 4                                     // 00000000592C: 8F498449
	s_mul_i32 s60, s73, 4                                      // 000000005930: 923C8449
	s_mov_b32 s26, s60                                         // 000000005934: BE9A003C
	v_and_b32_e32 v42, 3, v0                                   // 000000005938: 26540083
	v_cmp_eq_u32_e64 s[60:61], 0, v42                          // 00000000593C: D0CA003C 00025480
	v_and_b32_e32 v41, 12, v0                                  // 000000005944: 2652008C
	v_add_u32_e32 v1, s7, v41                                  // 000000005948: 68025207
	v_cndmask_b32_e64 v1, 0, v1, s[60:61]                      // 00000000594C: D1000001 00F20280
	v_and_b32_e32 v42, 3, v0                                   // 000000005954: 26540083
	v_cmp_eq_u32_e64 s[60:61], 1, v42                          // 000000005958: D0CA003C 00025481
	v_lshrrev_b32_e32 v41, 4, v0                               // 000000005960: 20520084
	v_and_b32_e32 v42, 12, v0                                  // 000000005964: 2654008C
	v_add_u32_e32 v41, v42, v41                                // 000000005968: 6852532A
	v_cndmask_b32_e64 v41, 0, v41, s[60:61]                    // 00000000596C: D1000029 00F25280
	v_add_u32_e32 v1, v1, v41                                  // 000000005974: 68025301
	v_lshlrev_b32_e32 v1, 2, v1                                // 000000005978: 24020282
	buffer_load_dword v19, v1, s[24:27], 0 offen               // 00000000597C: E0501000 80061301
	v_add_u32_e32 v1, s56, v1                                  // 000000005984: 68020238
	buffer_load_dword v20, v1, s[24:27], 0 offen               // 000000005988: E0501000 80061401
	s_cmp_le_u32 s73, 32                                       // 000000005990: BF0BA049
	s_cselect_b32 s56, 0, s56                                  // 000000005994: 85383880
	s_mul_i32 s60, s2, s67                                     // 000000005998: 923C4302
	s_mul_i32 s61, s84, s74                                    // 00000000599C: 923D4A54
	s_add_u32 s60, s60, s61                                    // 0000000059A0: 803C3D3C
	s_add_u32 s12, s60, s12                                    // 0000000059A4: 800C0C3C
	s_addc_u32 s13, 0, s13                                     // 0000000059A8: 820D0D80
	s_mul_i32 s60, s7, 0x108                                   // 0000000059AC: 923CFF07 00000108
	s_add_u32 m0, 0, s60                                       // 0000000059B4: 807C3C80
	s_mul_i32 s60, s7, 0x100                                   // 0000000059B8: 923CFF07 00000100
	v_lshlrev_b32_e32 v41, 2, v0                               // 0000000059C0: 24520082
	v_add_u32_e64 v41, v41, s60                                // 0000000059C4: D1340029 00007929
	v_add_u32_e32 v42, 0x400, v41                              // 0000000059CC: 685452FF 00000400
	buffer_load_dword v41, s[12:15], 0 offen lds               // 0000000059D4: E0511000 80030029
	s_mul_i32 s60, 4, 0x108                                    // 0000000059DC: 923CFF84 00000108
	s_add_u32 m0, m0, s60                                      // 0000000059E4: 807C3C7C
	buffer_load_dword v42, s[12:15], 0 offen lds               // 0000000059E8: E0511000 8003002A
	s_mul_i32 s60, 4, 0x108                                    // 0000000059F0: 923CFF84 00000108
	s_add_u32 m0, m0, s60                                      // 0000000059F8: 807C3C7C
	s_add_u32 s12, s74, s12                                    // 0000000059FC: 800C0C4A
	s_addc_u32 s13, 0, s13                                     // 000000005A00: 820D0D80
	buffer_load_dword v41, s[12:15], 0 offen lds               // 000000005A04: E0511000 80030029
	s_mul_i32 s60, 4, 0x108                                    // 000000005A0C: 923CFF84 00000108
	s_add_u32 m0, m0, s60                                      // 000000005A14: 807C3C7C
	buffer_load_dword v42, s[12:15], 0 offen lds               // 000000005A18: E0511000 8003002A
	s_mul_i32 s60, 4, 0x108                                    // 000000005A20: 923CFF84 00000108
	s_add_u32 m0, m0, s60                                      // 000000005A28: 807C3C7C
	v_lshrrev_b32_e32 v41, 4, v0                               // 000000005A2C: 20520084
	v_lshlrev_b32_e32 v41, 2, v41                              // 000000005A30: 24525282
	v_and_b32_e32 v42, 3, v0                                   // 000000005A34: 26540083
	v_add_u32_e32 v41, v42, v41                                // 000000005A38: 6852532A
	v_lshlrev_b32_e32 v74, 2, v41                              // 000000005A3C: 24945282
	v_mov_b32_e32 v75, v74                                     // 000000005A40: 7E96034A
	s_mul_i32 s60, s2, 64                                      // 000000005A44: 923CC002
	s_add_u32 s32, s60, s32                                    // 000000005A48: 8020203C
	s_addc_u32 s33, 0, s33                                     // 000000005A4C: 82212180
	s_add_u32 s36, s60, s36                                    // 000000005A50: 8024243C
	s_addc_u32 s37, 0, s37                                     // 000000005A54: 82252580
	s_mul_i32 s60, s2, s76                                     // 000000005A58: 923C4C02
	s_mul_i32 s61, s84, s75                                    // 000000005A5C: 923D4B54
	s_add_u32 s60, s60, s61                                    // 000000005A60: 803C3D3C
	s_add_u32 s8, s60, s8                                      // 000000005A64: 8008083C
	s_addc_u32 s9, 0, s9                                       // 000000005A68: 82090980
	s_mov_b32 s70, 0                                           // 000000005A6C: BEC60080
	s_and_b32 s71, s72, 0xffffff00                             // 000000005A70: 8647FF48 FFFFFF00
	s_mov_b32 s42, 0xff00ff00                                  // 000000005A78: BEAA00FF FF00FF00
	s_mov_b32 s43, 0xff00ff00                                  // 000000005A80: BEAB00FF FF00FF00
	s_mov_b32 s44, 0xf0f0f0f0                                  // 000000005A88: BEAC00FF F0F0F0F0
	s_mov_b32 s45, 0xf0f0f0f0                                  // 000000005A90: BEAD00FF F0F0F0F0
	s_mov_b32 s78, 0xff00ff                                    // 000000005A98: BECE00FF 00FF00FF
	s_mov_b32 s79, 0xff00ff                                    // 000000005AA0: BECF00FF 00FF00FF
	v_mul_i32_i24_e64 v78, 64, s66                             // 000000005AA8: D106004E 000084C0
	v_mov_b32_e32 v68, s68                                     // 000000005AB0: 7E880244
	s_mov_b32 s52, 0x7060302                                   // 000000005AB4: BEB400FF 07060302
	s_mov_b32 s53, 0x400                                       // 000000005ABC: BEB500FF 00000400
	s_mov_b32 s54, 0x40100                                     // 000000005AC4: BEB600FF 00040100
	s_mov_b32 s55, 0x4020100                                   // 000000005ACC: BEB700FF 04020100
	s_mov_b32 s6, 0x3fb8aa3b                                   // 000000005AD4: BE8600FF 3FB8AA3B
	v_mov_b32_e32 v14, 0xff800000                              // 000000005ADC: 7E1C02FF FF800000
	v_mov_b32_e32 v63, 0                                       // 000000005AE4: 7E7E0280
	v_mov_b32_e32 v47, 0                                       // 000000005AE8: 7E5E0280
	v_mov_b32_e32 v58, 0                                       // 000000005AEC: 7E740280
	v_mov_b32_e32 v22, 0xffff0000                              // 000000005AF0: 7E2C02FF FFFF0000
	v_mov_b32_e32 v23, 0x7fff0000                              // 000000005AF8: 7E2E02FF 7FFF0000
	v_mov_b32_e32 v24, 0x7fff                                  // 000000005B00: 7E3002FF 00007FFF
	v_add_u32_e32 v1, s56, v1                                  // 000000005B08: 68020238
	v_and_b32_e32 v10, 15, v0                                  // 000000005B0C: 2614008F
	v_lshlrev_b32_e32 v10, 2, v10                              // 000000005B10: 24141482
	v_lshlrev_b32_e32 v11, 2, v0                               // 000000005B14: 24160082
	s_mul_i32 s60, 0x100, s7                                   // 000000005B18: 923C07FF 00000100
	v_add_u32_e32 v11, s60, v11                                // 000000005B20: 6816163C
	v_lshrrev_b32_e32 v41, 4, v0                               // 000000005B24: 20520084
	v_lshlrev_b32_e32 v42, 6, v41                              // 000000005B28: 24545286
	v_and_b32_e32 v41, 15, v0                                  // 000000005B2C: 2652008F
	v_lshlrev_b32_e32 v41, 1, v41                              // 000000005B30: 24525281
	v_add_u32_e32 v42, v41, v42                                // 000000005B34: 68545529
	v_lshlrev_b32_e32 v12, 2, v42                              // 000000005B38: 24185482
	v_lshrrev_b32_e32 v41, 5, v0                               // 000000005B3C: 20520085
	v_lshlrev_b32_e32 v42, 5, v41                              // 000000005B40: 24545285
	v_and_b32_e32 v41, 31, v0                                  // 000000005B44: 2652009F
	v_lshrrev_b32_e32 v43, 4, v41                              // 000000005B48: 20565284
	v_add_u32_e32 v42, v43, v42                                // 000000005B4C: 6854552B
	v_and_b32_e32 v41, 15, v0                                  // 000000005B50: 2652008F
	v_lshlrev_b32_e32 v41, 1, v41                              // 000000005B54: 24525281
	v_add_u32_e32 v42, v41, v42                                // 000000005B58: 68545529
	v_lshlrev_b32_e32 v41, 2, v42                              // 000000005B5C: 24525482
	s_mul_i32 s60, 0x100, s7                                   // 000000005B60: 923C07FF 00000100
	v_add_u32_e64 v13, v41, s60                                // 000000005B68: D134000D 00007929
	v_lshlrev_b32_e32 v6, 4, v0                                // 000000005B70: 240C0084
	s_mul_i32 s60, s2, s69                                     // 000000005B74: 923C4502
	s_add_u32 s16, s60, s16                                    // 000000005B78: 8010103C
	s_addc_u32 s17, 0, s17                                     // 000000005B7C: 82111180
	v_and_b32_e32 v41, 15, v0                                  // 000000005B80: 2652008F
	v_lshlrev_b32_e32 v7, 4, v41                               // 000000005B84: 240E5284
	s_mul_i32 s61, s2, s69                                     // 000000005B88: 923D4502
	s_mul_i32 s60, s7, 0x100                                   // 000000005B8C: 923CFF07 00000100
	s_add_u32 s60, s60, s61                                    // 000000005B94: 803C3D3C
	s_add_u32 s20, s60, s20                                    // 000000005B98: 8014143C
	s_addc_u32 s21, 0, s21                                     // 000000005B9C: 82151580
	s_waitcnt vmcnt(4)                                         // 000000005BA0: BF8C0F74
	v_mul_u32_u24_dpp v41, v19, v68 row_newbcast:0 row_mask:0xf bank_mask:0xf// 000000005BA4: 105288FA FF015013
	v_mul_u32_u24_dpp v42, v19, v68 row_newbcast:4 row_mask:0xf bank_mask:0xf// 000000005BAC: 105488FA FF015413
	v_mul_u32_u24_dpp v43, v19, v68 row_newbcast:8 row_mask:0xf bank_mask:0xf// 000000005BB4: 105688FA FF015813
	v_mul_u32_u24_dpp v44, v19, v68 row_newbcast:12 row_mask:0xf bank_mask:0xf// 000000005BBC: 105888FA FF015C13
	v_add_u32_e32 v25, v41, v6                                 // 000000005BC4: 68320D29
	v_add_u32_e32 v26, v42, v6                                 // 000000005BC8: 68340D2A
	v_add_u32_e32 v27, v43, v6                                 // 000000005BCC: 68360D2B
	v_add_u32_e32 v28, v44, v6                                 // 000000005BD0: 68380D2C
	v_mul_u32_u24_dpp v41, v19, v68 row_newbcast:1 row_mask:0xf bank_mask:0xf// 000000005BD4: 105288FA FF015113
	v_mul_u32_u24_dpp v42, v19, v68 row_newbcast:5 row_mask:0xf bank_mask:0xf// 000000005BDC: 105488FA FF015513
	v_mul_u32_u24_dpp v43, v19, v68 row_newbcast:9 row_mask:0xf bank_mask:0xf// 000000005BE4: 105688FA FF015913
	v_mul_u32_u24_dpp v44, v19, v68 row_newbcast:13 row_mask:0xf bank_mask:0xf// 000000005BEC: 105888FA FF015D13
	v_add_u32_e32 v33, v41, v7                                 // 000000005BF4: 68420F29
	v_add_u32_e32 v34, v42, v7                                 // 000000005BF8: 68440F2A
	v_add_u32_e32 v35, v43, v7                                 // 000000005BFC: 68460F2B
	v_add_u32_e32 v36, v44, v7                                 // 000000005C00: 68480F2C
	v_mul_u32_u24_dpp v41, v19, v78 quad_perm:[0,0,0,0] row_mask:0xf bank_mask:0xf// 000000005C04: 10529CFA FF000013
	v_add_u32_e32 v2, v41, v74                                 // 000000005C0C: 68049529
	v_mul_u32_u24_dpp v41, v19, v78 quad_perm:[0,0,0,0] row_mask:0xf bank_mask:0xf// 000000005C10: 10529CFA FF000013
	v_add_u32_e32 v70, v41, v75                                // 000000005C18: 688C9729
	buffer_load_dword v52, v2, s[32:35], 0 offen               // 000000005C1C: E0501000 80083402
	buffer_load_dwordx4 a[0:3], v25, s[16:19], 0 offen         // 000000005C24: E05C1000 80840019
	buffer_load_dwordx4 a[4:7], v25, s[16:19], 0 offen offset:1024// 000000005C2C: E05C1400 80840419
	buffer_load_dwordx4 a[8:11], v26, s[16:19], 0 offen        // 000000005C34: E05C1000 8084081A
	buffer_load_dwordx4 a[12:15], v26, s[16:19], 0 offen offset:1024// 000000005C3C: E05C1400 80840C1A
	buffer_load_dwordx4 a[16:19], v27, s[16:19], 0 offen       // 000000005C44: E05C1000 8084101B
	buffer_load_dwordx4 a[20:23], v27, s[16:19], 0 offen offset:1024// 000000005C4C: E05C1400 8084141B
	buffer_load_dwordx4 a[24:27], v28, s[16:19], 0 offen       // 000000005C54: E05C1000 8084181C
	buffer_load_dwordx4 a[28:31], v28, s[16:19], 0 offen offset:1024// 000000005C5C: E05C1400 80841C1C
	buffer_load_dword v72, v70, s[36:39], 0 offen              // 000000005C64: E0501000 80094846
	buffer_load_dwordx4 a[64:67], v33, s[20:23], 0 offen       // 000000005C6C: E05C1000 80854021
	buffer_load_dwordx4 a[68:71], v34, s[20:23], 0 offen       // 000000005C74: E05C1000 80854422
	buffer_load_dwordx4 a[72:75], v35, s[20:23], 0 offen       // 000000005C7C: E05C1000 80854823
	buffer_load_dwordx4 a[76:79], v36, s[20:23], 0 offen       // 000000005C84: E05C1000 80854C24
	buffer_load_dwordx4 a[80:83], v33, s[20:23], 0 offen offset:1024// 000000005C8C: E05C1400 80855021
	buffer_load_dwordx4 a[84:87], v34, s[20:23], 0 offen offset:1024// 000000005C94: E05C1400 80855422
	buffer_load_dwordx4 a[88:91], v35, s[20:23], 0 offen offset:1024// 000000005C9C: E05C1400 80855823
	buffer_load_dwordx4 a[92:95], v36, s[20:23], 0 offen offset:1024// 000000005CA4: E05C1400 80855C24
	v_lshrrev_b32_e32 v41, 4, v0                               // 000000005CAC: 20520084
	v_lshlrev_b32_e32 v42, 1, v41                              // 000000005CB0: 24545281
	v_and_b32_e32 v41, 15, v0                                  // 000000005CB4: 2652008F
	v_mul_i32_i24_e32 v41, 0x42, v41                           // 000000005CB8: 0C5252FF 00000042
	v_add_u32_e32 v42, v41, v42                                // 000000005CC0: 68545529
	v_lshlrev_b32_e32 v4, 2, v42                               // 000000005CC4: 24085482
	s_mul_i32 s60, s7, 32                                      // 000000005CC8: 923CA007
	v_add_u32_e32 v4, s60, v4                                  // 000000005CCC: 6808083C
	s_waitcnt vmcnt(16) lgkmcnt(0)                             // 000000005CD0: BF8C4070
	s_barrier                                                  // 000000005CD4: BF8A0000
	ds_read_b64 v[96:97], v4                                   // 000000005CD8: D8EC0000 60000004
	ds_read_b64 v[100:101], v4 offset:128                      // 000000005CE0: D8EC0080 64000004
	s_waitcnt lgkmcnt(0)                                       // 000000005CE8: BF8CC07F
	v_and_b32_e32 v41, 0xffff, v96                             // 000000005CEC: 2652C0FF 0000FFFF
	v_lshrrev_b32_e32 v42, 16, v96                             // 000000005CF4: 2054C090
	v_and_b32_e32 v43, 0xffff, v97                             // 000000005CF8: 2656C2FF 0000FFFF
	v_lshrrev_b32_e32 v44, 16, v97                             // 000000005D00: 2058C290
	v_cvt_f32_f16_e32 v96, v41                                 // 000000005D04: 7EC01729
	v_cvt_f32_f16_e32 v97, v42                                 // 000000005D08: 7EC2172A
	v_cvt_f32_f16_e32 v98, v43                                 // 000000005D0C: 7EC4172B
	v_cvt_f32_f16_e32 v99, v44                                 // 000000005D10: 7EC6172C
	v_and_b32_e32 v41, 0xffff, v100                            // 000000005D14: 2652C8FF 0000FFFF
	v_lshrrev_b32_e32 v42, 16, v100                            // 000000005D1C: 2054C890
	v_and_b32_e32 v43, 0xffff, v101                            // 000000005D20: 2656CAFF 0000FFFF
	v_lshrrev_b32_e32 v44, 16, v101                            // 000000005D28: 2058CA90
	v_cvt_f32_f16_e32 v100, v41                                // 000000005D2C: 7EC81729
	v_cvt_f32_f16_e32 v101, v42                                // 000000005D30: 7ECA172A
	v_cvt_f32_f16_e32 v102, v43                                // 000000005D34: 7ECC172B
	v_cvt_f32_f16_e32 v103, v44                                // 000000005D38: 7ECE172C
	v_mov_b32_e32 v62, 0x358637bd                              // 000000005D3C: 7E7C02FF 358637BD
	v_max3_f32 v62, |v96|, |v97|, v62                          // 000000005D44: D1D3033E 04FAC360
	v_max3_f32 v62, |v98|, |v99|, v62                          // 000000005D4C: D1D3033E 04FAC762
	v_max3_f32 v62, |v100|, |v101|, v62                        // 000000005D54: D1D3033E 04FACB64
	v_max3_f32 v62, |v102|, |v103|, v62                        // 000000005D5C: D1D3033E 04FACF66
	ds_write_b32 v11, v62 offset:16896                         // 000000005D64: D81A4200 00003E0B
	s_waitcnt lgkmcnt(0)                                       // 000000005D6C: BF8CC07F
	s_barrier                                                  // 000000005D70: BF8A0000
	ds_read_b32 v80, v10 offset:16896                          // 000000005D74: D86C4200 5000000A
	ds_read_b32 v81, v10 offset:16960                          // 000000005D7C: D86C4240 5100000A
	ds_read_b32 v82, v10 offset:17024                          // 000000005D84: D86C4280 5200000A
	ds_read_b32 v83, v10 offset:17088                          // 000000005D8C: D86C42C0 5300000A
	ds_read_b32 v84, v10 offset:17152                          // 000000005D94: D86C4300 5400000A
	ds_read_b32 v85, v10 offset:17216                          // 000000005D9C: D86C4340 5500000A
	ds_read_b32 v86, v10 offset:17280                          // 000000005DA4: D86C4380 5600000A
	ds_read_b32 v87, v10 offset:17344                          // 000000005DAC: D86C43C0 5700000A
	ds_read_b32 v88, v10 offset:17408                          // 000000005DB4: D86C4400 5800000A
	ds_read_b32 v89, v10 offset:17472                          // 000000005DBC: D86C4440 5900000A
	ds_read_b32 v90, v10 offset:17536                          // 000000005DC4: D86C4480 5A00000A
	ds_read_b32 v91, v10 offset:17600                          // 000000005DCC: D86C44C0 5B00000A
	ds_read_b32 v92, v10 offset:17664                          // 000000005DD4: D86C4500 5C00000A
	ds_read_b32 v93, v10 offset:17728                          // 000000005DDC: D86C4540 5D00000A
	ds_read_b32 v94, v10 offset:17792                          // 000000005DE4: D86C4580 5E00000A
	ds_read_b32 v95, v10 offset:17856                          // 000000005DEC: D86C45C0 5F00000A
	s_waitcnt lgkmcnt(0)                                       // 000000005DF4: BF8CC07F
	v_max3_f32 v62, |v80|, |v81|, v62                          // 000000005DF8: D1D3033E 04FAA350
	v_max3_f32 v62, |v82|, |v83|, v62                          // 000000005E00: D1D3033E 04FAA752
	v_max3_f32 v62, |v84|, |v85|, v62                          // 000000005E08: D1D3033E 04FAAB54
	v_max3_f32 v62, |v86|, |v87|, v62                          // 000000005E10: D1D3033E 04FAAF56
	v_max3_f32 v62, |v88|, |v89|, v62                          // 000000005E18: D1D3033E 04FAB358
	v_max3_f32 v62, |v90|, |v91|, v62                          // 000000005E20: D1D3033E 04FAB75A
	v_max3_f32 v62, |v92|, |v93|, v62                          // 000000005E28: D1D3033E 04FABB5C
	v_max3_f32 v62, |v94|, |v95|, v62                          // 000000005E30: D1D3033E 04FABF5E
	v_rcp_f32_e32 v62, v62                                     // 000000005E38: 7E7C453E
	s_nop 1                                                    // 000000005E3C: BF800001
	v_mul_f32_e32 v62, 0x43700000, v62                         // 000000005E40: 0A7C7CFF 43700000
	v_mul_f32_e32 v96, v62, v96                                // 000000005E48: 0AC0C13E
	v_mul_f32_e32 v97, v62, v97                                // 000000005E4C: 0AC2C33E
	v_mul_f32_e32 v98, v62, v98                                // 000000005E50: 0AC4C53E
	v_mul_f32_e32 v99, v62, v99                                // 000000005E54: 0AC6C73E
	v_mul_f32_e32 v100, v62, v100                              // 000000005E58: 0AC8C93E
	v_mul_f32_e32 v101, v62, v101                              // 000000005E5C: 0ACACB3E
	v_mul_f32_e32 v102, v62, v102                              // 000000005E60: 0ACCCD3E
	v_mul_f32_e32 v103, v62, v103                              // 000000005E64: 0ACECF3E
	v_rcp_f32_e32 v54, v62                                     // 000000005E68: 7E6C453E
	v_cvt_pk_fp8_f32 v96, v96, v97                             // 000000005E6C: D2A20060 0002C360
	v_cvt_pk_fp8_f32 v96, v98, v99 op_sel:[0,0,1]              // 000000005E74: D2A24060 0002C762
	v_cvt_pk_fp8_f32 v97, v100, v101                           // 000000005E7C: D2A20061 0002CB64
	v_cvt_pk_fp8_f32 v97, v102, v103 op_sel:[0,0,1]            // 000000005E84: D2A24061 0002CF66
	ds_write_b32 v13, v96 offset:25088                         // 000000005E8C: D81A6200 0000600D
	ds_write_b32 v13, v97 offset:26112                         // 000000005E94: D81A6600 0000610D
	s_waitcnt lgkmcnt(0)                                       // 000000005E9C: BF8CC07F
	s_barrier                                                  // 000000005EA0: BF8A0000
	ds_read_b64 v[96:97], v12 offset:25088                     // 000000005EA4: D8EC6200 6000000C
	ds_read_b64 v[98:99], v12 offset:25216                     // 000000005EAC: D8EC6280 6200000C
	ds_read_b64 v[100:101], v12 offset:26112                   // 000000005EB4: D8EC6600 6400000C
	ds_read_b64 v[102:103], v12 offset:26240                   // 000000005EBC: D8EC6680 6600000C
	v_mov_b32_e32 v224, 0                                      // 000000005EC4: 7FC00280
	v_mov_b32_e32 v225, 0                                      // 000000005EC8: 7FC20280
	v_mov_b32_e32 v226, 0                                      // 000000005ECC: 7FC40280
	v_mov_b32_e32 v227, 0                                      // 000000005ED0: 7FC60280
	v_mov_b32_e32 v228, 0                                      // 000000005ED4: 7FC80280
	v_mov_b32_e32 v229, 0                                      // 000000005ED8: 7FCA0280
	v_mov_b32_e32 v230, 0                                      // 000000005EDC: 7FCC0280
	v_mov_b32_e32 v231, 0                                      // 000000005EE0: 7FCE0280
	v_mov_b32_e32 v192, 0                                      // 000000005EE4: 7F800280
	v_mov_b32_e32 v193, 0                                      // 000000005EE8: 7F820280
	v_mov_b32_e32 v194, 0                                      // 000000005EEC: 7F840280
	v_mov_b32_e32 v195, 0                                      // 000000005EF0: 7F860280
	v_mov_b32_e32 v196, 0                                      // 000000005EF4: 7F880280
	v_mov_b32_e32 v197, 0                                      // 000000005EF8: 7F8A0280
	v_mov_b32_e32 v198, 0                                      // 000000005EFC: 7F8C0280
	v_mov_b32_e32 v199, 0                                      // 000000005F00: 7F8E0280
	s_waitcnt vmcnt(8) lgkmcnt(0)                              // 000000005F04: BF8C0078
	s_barrier                                                  // 000000005F08: BF8A0000
	s_cmp_lt_u32 s73, 16                                       // 000000005F0C: BF0A9049
	s_cbranch_scc1 label_1884                                  // 000000005F10: BF85093F
	s_cmp_lt_i32 s7, 2                                         // 000000005F14: BF048207
	s_cbranch_scc0 label_13E7                                  // 000000005F18: BF8404A0

0000000000005f1c <label_0F47>:
	s_waitcnt vmcnt(8) lgkmcnt(0)                              // 000000005F1C: BF8C0078
	v_mul_u32_u24_dpp v41, v20, v68 row_newbcast:0 row_mask:0xf bank_mask:0xf// 000000005F20: 105288FA FF015014
	v_mul_u32_u24_dpp v42, v20, v68 row_newbcast:4 row_mask:0xf bank_mask:0xf// 000000005F28: 105488FA FF015414
	v_mul_u32_u24_dpp v43, v20, v68 row_newbcast:8 row_mask:0xf bank_mask:0xf// 000000005F30: 105688FA FF015814
	v_mul_u32_u24_dpp v44, v20, v68 row_newbcast:12 row_mask:0xf bank_mask:0xf// 000000005F38: 105888FA FF015C14
	v_add_u32_e32 v29, v41, v6                                 // 000000005F40: 683A0D29
	v_add_u32_e32 v30, v42, v6                                 // 000000005F44: 683C0D2A
	v_add_u32_e32 v31, v43, v6                                 // 000000005F48: 683E0D2B
	v_add_u32_e32 v32, v44, v6                                 // 000000005F4C: 68400D2C
	v_mul_u32_u24_dpp v41, v20, v78 quad_perm:[0,0,0,0] row_mask:0xf bank_mask:0xf// 000000005F50: 10529CFA FF000014
	v_add_u32_e32 v3, v41, v74                                 // 000000005F58: 68069529
	v_mul_u32_u24_dpp v41, v20, v78 quad_perm:[0,0,0,0] row_mask:0xf bank_mask:0xf// 000000005F5C: 10529CFA FF000014
	v_add_u32_e32 v71, v41, v75                                // 000000005F64: 688E9729
	v_mfma_f32_16x16x32_fp8_fp8 v[128:131], a[0:1], v[96:97], 0// 000000005F68: D3F30080 0A02C100
	v_mfma_f32_16x16x32_fp8_fp8 v[128:131], a[2:3], v[98:99], v[128:131]// 000000005F70: D3F30080 0E02C502
	buffer_load_dwordx4 a[32:35], v29, s[16:19], 0 offen       // 000000005F78: E05C1000 8084201D
	v_mfma_f32_16x16x32_fp8_fp8 v[128:131], a[4:5], v[100:101], v[128:131]// 000000005F80: D3F30080 0E02C904
	v_mfma_f32_16x16x32_fp8_fp8 v[128:131], a[6:7], v[102:103], v[128:131]// 000000005F88: D3F30080 0E02CD06
	buffer_load_dword v19, v1, s[24:27], 0 offen               // 000000005F90: E0501000 80061301
	v_mfma_f32_16x16x32_fp8_fp8 v[132:135], a[8:9], v[96:97], 0// 000000005F98: D3F30084 0A02C108
	v_mfma_f32_16x16x32_fp8_fp8 v[132:135], a[10:11], v[98:99], v[132:135]// 000000005FA0: D3F30084 0E12C50A
	buffer_load_dwordx4 a[36:39], v29, s[16:19], 0 offen offset:1024// 000000005FA8: E05C1400 8084241D
	v_mfma_f32_16x16x32_fp8_fp8 v[132:135], a[12:13], v[100:101], v[132:135]// 000000005FB0: D3F30084 0E12C90C
	v_mfma_f32_16x16x32_fp8_fp8 v[132:135], a[14:15], v[102:103], v[132:135]// 000000005FB8: D3F30084 0E12CD0E
	v_mfma_f32_16x16x32_fp8_fp8 v[136:139], a[16:17], v[96:97], 0// 000000005FC0: D3F30088 0A02C110
	v_mfma_f32_16x16x32_fp8_fp8 v[136:139], a[18:19], v[98:99], v[136:139]// 000000005FC8: D3F30088 0E22C512
	buffer_load_dwordx4 a[40:43], v30, s[16:19], 0 offen       // 000000005FD0: E05C1000 8084281E
	v_mfma_f32_16x16x32_fp8_fp8 v[136:139], a[20:21], v[100:101], v[136:139]// 000000005FD8: D3F30088 0E22C914
	v_mfma_f32_16x16x32_fp8_fp8 v[136:139], a[22:23], v[102:103], v[136:139]// 000000005FE0: D3F30088 0E22CD16
	v_mfma_f32_16x16x32_fp8_fp8 v[140:143], a[24:25], v[96:97], 0// 000000005FE8: D3F3008C 0A02C118
	v_mfma_f32_16x16x32_fp8_fp8 v[140:143], a[26:27], v[98:99], v[140:143]// 000000005FF0: D3F3008C 0E32C51A
	buffer_load_dwordx4 a[44:47], v30, s[16:19], 0 offen offset:1024// 000000005FF8: E05C1400 80842C1E
	v_mfma_f32_16x16x32_fp8_fp8 v[140:143], a[28:29], v[100:101], v[140:143]// 000000006000: D3F3008C 0E32C91C
	v_mfma_f32_16x16x32_fp8_fp8 v[140:143], a[30:31], v[102:103], v[140:143]// 000000006008: D3F3008C 0E32CD1E
	buffer_load_dword v53, v3, s[32:35], 0 offen               // 000000006010: E0501000 80083503
	v_mov_b32_dpp v41, v52 row_shr:4 row_mask:0xf bank_mask:0xf// 000000006018: 7E5202FA FF011434
	v_mov_b32_dpp v42, v52 row_shl:4 row_mask:0xf bank_mask:0xf// 000000006020: 7E5402FA FF010434
	v_cndmask_b32_e64 v248, v52, v41, s[44:45]                 // 000000006028: D10000F8 00B25334
	v_cndmask_b32_e64 v249, v42, v52, s[44:45]                 // 000000006030: D10000F9 00B2692A
	v_mov_b32_dpp v41, v248 row_shr:8 row_mask:0xf bank_mask:0xf// 000000006038: 7E5202FA FF0118F8
	v_mov_b32_dpp v42, v248 row_shl:8 row_mask:0xf bank_mask:0xf// 000000006040: 7E5402FA FF0108F8
	v_mov_b32_dpp v43, v249 row_shr:8 row_mask:0xf bank_mask:0xf// 000000006048: 7E5602FA FF0118F9
	v_mov_b32_dpp v44, v249 row_shl:8 row_mask:0xf bank_mask:0xf// 000000006050: 7E5802FA FF0108F9
	v_mov_b32_e32 v45, v248                                    // 000000006058: 7E5A03F8
	v_mov_b32_e32 v46, v249                                    // 00000000605C: 7E5C03F9
	v_cndmask_b32_e64 v248, v45, v41, s[42:43]                 // 000000006060: D10000F8 00AA532D
	v_cndmask_b32_e64 v250, v45, v42, s[78:79]                 // 000000006068: D10000FA 013A552D
	v_cndmask_b32_e64 v249, v46, v43, s[42:43]                 // 000000006070: D10000F9 00AA572E
	v_cndmask_b32_e64 v251, v46, v44, s[78:79]                 // 000000006078: D10000FB 013A592E
	v_mov_b32_dpp v41, v72 row_shr:4 row_mask:0xf bank_mask:0xf// 000000006080: 7E5202FA FF011448
	v_mov_b32_dpp v42, v72 row_shl:4 row_mask:0xf bank_mask:0xf// 000000006088: 7E5402FA FF010448
	v_cndmask_b32_e64 v252, v72, v41, s[44:45]                 // 000000006090: D10000FC 00B25348
	v_cndmask_b32_e64 v253, v42, v72, s[44:45]                 // 000000006098: D10000FD 00B2912A
	v_mov_b32_dpp v41, v252 row_shr:8 row_mask:0xf bank_mask:0xf// 0000000060A0: 7E5202FA FF0118FC
	v_mov_b32_dpp v42, v252 row_shl:8 row_mask:0xf bank_mask:0xf// 0000000060A8: 7E5402FA FF0108FC
	v_mov_b32_dpp v43, v253 row_shr:8 row_mask:0xf bank_mask:0xf// 0000000060B0: 7E5602FA FF0118FD
	v_mov_b32_dpp v44, v253 row_shl:8 row_mask:0xf bank_mask:0xf// 0000000060B8: 7E5802FA FF0108FD
	v_mov_b32_e32 v45, v252                                    // 0000000060C0: 7E5A03FC
	v_mov_b32_e32 v46, v253                                    // 0000000060C4: 7E5C03FD
	v_cndmask_b32_e64 v252, v45, v41, s[42:43]                 // 0000000060C8: D10000FC 00AA532D
	v_cndmask_b32_e64 v254, v45, v42, s[78:79]                 // 0000000060D0: D10000FE 013A552D
	v_cndmask_b32_e64 v253, v46, v43, s[42:43]                 // 0000000060D8: D10000FD 00AA572E
	v_cndmask_b32_e64 v255, v46, v44, s[78:79]                 // 0000000060E0: D10000FF 013A592E
	buffer_load_dword v73, v71, s[36:39], 0 offen              // 0000000060E8: E0501000 80094947
	v_mul_f32_e32 v128, v54, v128                              // 0000000060F0: 0B010136
	v_mul_f32_e32 v129, v54, v129                              // 0000000060F4: 0B030336
	v_mul_f32_e32 v130, v54, v130                              // 0000000060F8: 0B050536
	v_mul_f32_e32 v131, v54, v131                              // 0000000060FC: 0B070736
	v_mul_f32_e32 v132, v54, v132                              // 000000006100: 0B090936
	v_mul_f32_e32 v133, v54, v133                              // 000000006104: 0B0B0B36
	v_mul_f32_e32 v134, v54, v134                              // 000000006108: 0B0D0D36
	v_mul_f32_e32 v135, v54, v135                              // 00000000610C: 0B0F0F36
	v_mul_f32_e32 v136, v54, v136                              // 000000006110: 0B111136
	v_mul_f32_e32 v137, v54, v137                              // 000000006114: 0B131336
	v_mul_f32_e32 v138, v54, v138                              // 000000006118: 0B151536
	v_mul_f32_e32 v139, v54, v139                              // 00000000611C: 0B171736
	v_mul_f32_e32 v140, v54, v140                              // 000000006120: 0B191936
	v_mul_f32_e32 v141, v54, v141                              // 000000006124: 0B1B1B36
	v_mul_f32_e32 v142, v54, v142                              // 000000006128: 0B1D1D36
	v_mul_f32_e32 v143, v54, v143                              // 00000000612C: 0B1F1F36
	buffer_load_dwordx4 a[48:51], v31, s[16:19], 0 offen       // 000000006130: E05C1000 8084301F
	v_mul_f32_dpp v128, v248, v128 quad_perm:[0,0,0,0] row_mask:0xf bank_mask:0xf// 000000006138: 0B0100FA FF0000F8
	v_mul_f32_dpp v129, v248, v129 quad_perm:[1,1,1,1] row_mask:0xf bank_mask:0xf// 000000006140: 0B0302FA FF0055F8
	v_mul_f32_dpp v130, v248, v130 quad_perm:[2,2,2,2] row_mask:0xf bank_mask:0xf// 000000006148: 0B0504FA FF00AAF8
	v_mul_f32_dpp v131, v248, v131 quad_perm:[3,3,3,3] row_mask:0xf bank_mask:0xf// 000000006150: 0B0706FA FF00FFF8
	v_mul_f32_dpp v132, v249, v132 quad_perm:[0,0,0,0] row_mask:0xf bank_mask:0xf// 000000006158: 0B0908FA FF0000F9
	v_mul_f32_dpp v133, v249, v133 quad_perm:[1,1,1,1] row_mask:0xf bank_mask:0xf// 000000006160: 0B0B0AFA FF0055F9
	v_mul_f32_dpp v134, v249, v134 quad_perm:[2,2,2,2] row_mask:0xf bank_mask:0xf// 000000006168: 0B0D0CFA FF00AAF9
	v_mul_f32_dpp v135, v249, v135 quad_perm:[3,3,3,3] row_mask:0xf bank_mask:0xf// 000000006170: 0B0F0EFA FF00FFF9
	v_mul_f32_dpp v136, v250, v136 quad_perm:[0,0,0,0] row_mask:0xf bank_mask:0xf// 000000006178: 0B1110FA FF0000FA
	v_mul_f32_dpp v137, v250, v137 quad_perm:[1,1,1,1] row_mask:0xf bank_mask:0xf// 000000006180: 0B1312FA FF0055FA
	v_mul_f32_dpp v138, v250, v138 quad_perm:[2,2,2,2] row_mask:0xf bank_mask:0xf// 000000006188: 0B1514FA FF00AAFA
	v_mul_f32_dpp v139, v250, v139 quad_perm:[3,3,3,3] row_mask:0xf bank_mask:0xf// 000000006190: 0B1716FA FF00FFFA
	v_mul_f32_dpp v140, v251, v140 quad_perm:[0,0,0,0] row_mask:0xf bank_mask:0xf// 000000006198: 0B1918FA FF0000FB
	v_mul_f32_dpp v141, v251, v141 quad_perm:[1,1,1,1] row_mask:0xf bank_mask:0xf// 0000000061A0: 0B1B1AFA FF0055FB
	v_mul_f32_dpp v142, v251, v142 quad_perm:[2,2,2,2] row_mask:0xf bank_mask:0xf// 0000000061A8: 0B1D1CFA FF00AAFB
	v_mul_f32_dpp v143, v251, v143 quad_perm:[3,3,3,3] row_mask:0xf bank_mask:0xf// 0000000061B0: 0B1F1EFA FF00FFFB
	buffer_load_dwordx4 a[52:55], v31, s[16:19], 0 offen offset:1024// 0000000061B8: E05C1400 8084341F
	v_mov_b32_e32 v62, v128                                    // 0000000061C0: 7E7C0380
	v_max3_f32 v62, v128, v129, v62                            // 0000000061C4: D1D3003E 04FB0380
	v_max3_f32 v62, v130, v131, v62                            // 0000000061CC: D1D3003E 04FB0782
	v_max3_f32 v62, v132, v133, v62                            // 0000000061D4: D1D3003E 04FB0B84
	v_max3_f32 v62, v134, v135, v62                            // 0000000061DC: D1D3003E 04FB0F86
	v_max3_f32 v62, v136, v137, v62                            // 0000000061E4: D1D3003E 04FB1388
	v_max3_f32 v62, v138, v139, v62                            // 0000000061EC: D1D3003E 04FB178A
	v_max3_f32 v62, v140, v141, v62                            // 0000000061F4: D1D3003E 04FB1B8C
	v_max3_f32 v62, v142, v143, v62                            // 0000000061FC: D1D3003E 04FB1F8E
	ds_write_b32 v11, v62 offset:16896                         // 000000006204: D81A4200 00003E0B
	buffer_load_dwordx4 a[56:59], v32, s[16:19], 0 offen       // 00000000620C: E05C1000 80843820
	v_mul_u32_u24_dpp v41, v20, v68 row_newbcast:1 row_mask:0xf bank_mask:0xf// 000000006214: 105288FA FF015114
	v_mul_u32_u24_dpp v42, v20, v68 row_newbcast:5 row_mask:0xf bank_mask:0xf// 00000000621C: 105488FA FF015514
	v_mul_u32_u24_dpp v43, v20, v68 row_newbcast:9 row_mask:0xf bank_mask:0xf// 000000006224: 105688FA FF015914
	v_mul_u32_u24_dpp v44, v20, v68 row_newbcast:13 row_mask:0xf bank_mask:0xf// 00000000622C: 105888FA FF015D14
	v_add_u32_e32 v37, v41, v7                                 // 000000006234: 684A0F29
	v_add_u32_e32 v38, v42, v7                                 // 000000006238: 684C0F2A
	v_add_u32_e32 v39, v43, v7                                 // 00000000623C: 684E0F2B
	v_add_u32_e32 v40, v44, v7                                 // 000000006240: 68500F2C
	v_mul_f32_e32 v224, v63, v224                              // 000000006244: 0BC1C13F
	v_mul_f32_e32 v225, v63, v225                              // 000000006248: 0BC3C33F
	v_mul_f32_e32 v226, v63, v226                              // 00000000624C: 0BC5C53F
	v_mul_f32_e32 v227, v63, v227                              // 000000006250: 0BC7C73F
	v_mul_f32_e32 v228, v63, v228                              // 000000006254: 0BC9C93F
	v_mul_f32_e32 v229, v63, v229                              // 000000006258: 0BCBCB3F
	v_mul_f32_e32 v230, v63, v230                              // 00000000625C: 0BCDCD3F
	v_mul_f32_e32 v231, v63, v231                              // 000000006260: 0BCFCF3F
	s_waitcnt lgkmcnt(0)                                       // 000000006264: BF8CC07F
	s_barrier                                                  // 000000006268: BF8A0000
	ds_read_b32 v80, v10 offset:16896                          // 00000000626C: D86C4200 5000000A
	ds_read_b32 v81, v10 offset:16960                          // 000000006274: D86C4240 5100000A
	ds_read_b32 v82, v10 offset:17024                          // 00000000627C: D86C4280 5200000A
	ds_read_b32 v83, v10 offset:17088                          // 000000006284: D86C42C0 5300000A
	ds_read_b32 v84, v10 offset:17152                          // 00000000628C: D86C4300 5400000A
	ds_read_b32 v85, v10 offset:17216                          // 000000006294: D86C4340 5500000A
	ds_read_b32 v86, v10 offset:17280                          // 00000000629C: D86C4380 5600000A
	ds_read_b32 v87, v10 offset:17344                          // 0000000062A4: D86C43C0 5700000A
	ds_read_b32 v88, v10 offset:17408                          // 0000000062AC: D86C4400 5800000A
	ds_read_b32 v89, v10 offset:17472                          // 0000000062B4: D86C4440 5900000A
	ds_read_b32 v90, v10 offset:17536                          // 0000000062BC: D86C4480 5A00000A
	ds_read_b32 v91, v10 offset:17600                          // 0000000062C4: D86C44C0 5B00000A
	ds_read_b32 v92, v10 offset:17664                          // 0000000062CC: D86C4500 5C00000A
	ds_read_b32 v93, v10 offset:17728                          // 0000000062D4: D86C4540 5D00000A
	ds_read_b32 v94, v10 offset:17792                          // 0000000062DC: D86C4580 5E00000A
	ds_read_b32 v95, v10 offset:17856                          // 0000000062E4: D86C45C0 5F00000A
	buffer_load_dwordx4 a[60:63], v32, s[16:19], 0 offen offset:1024// 0000000062EC: E05C1400 80843C20
	v_mul_f32_e32 v192, v58, v192                              // 0000000062F4: 0B81813A
	v_mul_f32_e32 v193, v58, v193                              // 0000000062F8: 0B83833A
	v_mul_f32_e32 v194, v58, v194                              // 0000000062FC: 0B85853A
	v_mul_f32_e32 v195, v58, v195                              // 000000006300: 0B87873A
	v_mul_f32_e32 v196, v58, v196                              // 000000006304: 0B89893A
	v_mul_f32_e32 v197, v58, v197                              // 000000006308: 0B8B8B3A
	v_mul_f32_e32 v198, v58, v198                              // 00000000630C: 0B8D8D3A
	v_mul_f32_e32 v199, v58, v199                              // 000000006310: 0B8F8F3A
	s_waitcnt lgkmcnt(0)                                       // 000000006314: BF8CC07F
	v_max3_f32 v62, v80, v81, v62                              // 000000006318: D1D3003E 04FAA350
	v_max3_f32 v62, v82, v83, v62                              // 000000006320: D1D3003E 04FAA752
	v_max3_f32 v62, v84, v85, v62                              // 000000006328: D1D3003E 04FAAB54
	v_max3_f32 v62, v86, v87, v62                              // 000000006330: D1D3003E 04FAAF56
	v_max3_f32 v62, v88, v89, v62                              // 000000006338: D1D3003E 04FAB358
	v_max3_f32 v62, v90, v91, v62                              // 000000006340: D1D3003E 04FAB75A
	v_max3_f32 v62, v92, v93, v62                              // 000000006348: D1D3003E 04FABB5C
	v_max3_f32 v62, v94, v95, v62                              // 000000006350: D1D3003E 04FABF5E
	buffer_load_dwordx4 a[96:99], v37, s[20:23], 0 offen       // 000000006358: E05C1000 80856025
	v_mov_b32_e32 v41, 0xff800000                              // 000000006360: 7E5202FF FF800000
	v_cmp_eq_u32_e64 s[40:41], v41, v14                        // 000000006368: D0CA0028 00021D29
	s_nop 1                                                    // 000000006370: BF800001
	v_max_f32_e32 v18, v62, v14                                // 000000006374: 16241D3E
	v_mul_f32_e32 v67, s64, v18                                // 000000006378: 0A862440
	v_fma_f32 v128, v128, s64, -v67                            // 00000000637C: D1CB0080 850C8180
	v_fma_f32 v129, v129, s64, -v67                            // 000000006384: D1CB0081 850C8181
	v_fma_f32 v130, v130, s64, -v67                            // 00000000638C: D1CB0082 850C8182
	v_fma_f32 v131, v131, s64, -v67                            // 000000006394: D1CB0083 850C8183
	v_fma_f32 v132, v132, s64, -v67                            // 00000000639C: D1CB0084 850C8184
	v_fma_f32 v133, v133, s64, -v67                            // 0000000063A4: D1CB0085 850C8185
	v_fma_f32 v134, v134, s64, -v67                            // 0000000063AC: D1CB0086 850C8186
	v_fma_f32 v135, v135, s64, -v67                            // 0000000063B4: D1CB0087 850C8187
	v_fma_f32 v136, v136, s64, -v67                            // 0000000063BC: D1CB0088 850C8188
	v_fma_f32 v137, v137, s64, -v67                            // 0000000063C4: D1CB0089 850C8189
	v_fma_f32 v138, v138, s64, -v67                            // 0000000063CC: D1CB008A 850C818A
	v_fma_f32 v139, v139, s64, -v67                            // 0000000063D4: D1CB008B 850C818B
	v_fma_f32 v140, v140, s64, -v67                            // 0000000063DC: D1CB008C 850C818C
	v_fma_f32 v141, v141, s64, -v67                            // 0000000063E4: D1CB008D 850C818D
	v_fma_f32 v142, v142, s64, -v67                            // 0000000063EC: D1CB008E 850C818E
	v_fma_f32 v143, v143, s64, -v67                            // 0000000063F4: D1CB008F 850C818F
	buffer_load_dwordx4 a[100:103], v38, s[20:23], 0 offen     // 0000000063FC: E05C1000 80856426
	v_exp_f32_e32 v128, v128                                   // 000000006404: 7F004180
	v_exp_f32_e32 v129, v129                                   // 000000006408: 7F024181
	v_exp_f32_e32 v130, v130                                   // 00000000640C: 7F044182
	v_exp_f32_e32 v131, v131                                   // 000000006410: 7F064183
	v_exp_f32_e32 v132, v132                                   // 000000006414: 7F084184
	v_exp_f32_e32 v133, v133                                   // 000000006418: 7F0A4185
	v_exp_f32_e32 v134, v134                                   // 00000000641C: 7F0C4186
	v_exp_f32_e32 v135, v135                                   // 000000006420: 7F0E4187
	v_exp_f32_e32 v136, v136                                   // 000000006424: 7F104188
	v_exp_f32_e32 v137, v137                                   // 000000006428: 7F124189
	v_exp_f32_e32 v138, v138                                   // 00000000642C: 7F14418A
	v_exp_f32_e32 v139, v139                                   // 000000006430: 7F16418B
	v_exp_f32_e32 v140, v140                                   // 000000006434: 7F18418C
	v_exp_f32_e32 v141, v141                                   // 000000006438: 7F1A418D
	v_exp_f32_e32 v142, v142                                   // 00000000643C: 7F1C418E
	v_exp_f32_e32 v143, v143                                   // 000000006440: 7F1E418F
	buffer_load_dwordx4 a[104:107], v39, s[20:23], 0 offen     // 000000006444: E05C1000 80856827
	v_mul_f32_dpp v240, v252, v128 quad_perm:[0,0,0,0] row_mask:0xf bank_mask:0xf// 00000000644C: 0BE100FA FF0000FC
	v_mul_f32_dpp v241, v252, v129 quad_perm:[1,1,1,1] row_mask:0xf bank_mask:0xf// 000000006454: 0BE302FA FF0055FC
	v_mul_f32_dpp v242, v252, v130 quad_perm:[2,2,2,2] row_mask:0xf bank_mask:0xf// 00000000645C: 0BE504FA FF00AAFC
	v_mul_f32_dpp v243, v252, v131 quad_perm:[3,3,3,3] row_mask:0xf bank_mask:0xf// 000000006464: 0BE706FA FF00FFFC
	v_mul_f32_dpp v244, v253, v132 quad_perm:[0,0,0,0] row_mask:0xf bank_mask:0xf// 00000000646C: 0BE908FA FF0000FD
	v_mul_f32_dpp v245, v253, v133 quad_perm:[1,1,1,1] row_mask:0xf bank_mask:0xf// 000000006474: 0BEB0AFA FF0055FD
	v_mul_f32_dpp v246, v253, v134 quad_perm:[2,2,2,2] row_mask:0xf bank_mask:0xf// 00000000647C: 0BED0CFA FF00AAFD
	v_mul_f32_dpp v247, v253, v135 quad_perm:[3,3,3,3] row_mask:0xf bank_mask:0xf// 000000006484: 0BEF0EFA FF00FFFD
	v_mul_f32_dpp v248, v254, v136 quad_perm:[0,0,0,0] row_mask:0xf bank_mask:0xf// 00000000648C: 0BF110FA FF0000FE
	v_mul_f32_dpp v249, v254, v137 quad_perm:[1,1,1,1] row_mask:0xf bank_mask:0xf// 000000006494: 0BF312FA FF0055FE
	v_mul_f32_dpp v250, v254, v138 quad_perm:[2,2,2,2] row_mask:0xf bank_mask:0xf// 00000000649C: 0BF514FA FF00AAFE
	v_mul_f32_dpp v251, v254, v139 quad_perm:[3,3,3,3] row_mask:0xf bank_mask:0xf// 0000000064A4: 0BF716FA FF00FFFE
	v_mul_f32_dpp v252, v255, v140 quad_perm:[0,0,0,0] row_mask:0xf bank_mask:0xf// 0000000064AC: 0BF918FA FF0000FF
	v_mul_f32_dpp v253, v255, v141 quad_perm:[1,1,1,1] row_mask:0xf bank_mask:0xf// 0000000064B4: 0BFB1AFA FF0055FF
	v_mul_f32_dpp v254, v255, v142 quad_perm:[2,2,2,2] row_mask:0xf bank_mask:0xf// 0000000064BC: 0BFD1CFA FF00AAFF
	v_mul_f32_dpp v255, v255, v143 quad_perm:[3,3,3,3] row_mask:0xf bank_mask:0xf// 0000000064C4: 0BFF1EFA FF00FFFF
	v_mov_b32_e32 v62, 0x358637bd                              // 0000000064CC: 7E7C02FF 358637BD
	v_max3_f32 v62, |v240|, |v241|, v62                        // 0000000064D4: D1D3033E 04FBE3F0
	v_max3_f32 v62, |v242|, |v243|, v62                        // 0000000064DC: D1D3033E 04FBE7F2
	v_max3_f32 v62, |v244|, |v245|, v62                        // 0000000064E4: D1D3033E 04FBEBF4
	v_max3_f32 v62, |v246|, |v247|, v62                        // 0000000064EC: D1D3033E 04FBEFF6
	v_max3_f32 v62, |v248|, |v249|, v62                        // 0000000064F4: D1D3033E 04FBF3F8
	v_max3_f32 v62, |v250|, |v251|, v62                        // 0000000064FC: D1D3033E 04FBF7FA
	v_max3_f32 v62, |v252|, |v253|, v62                        // 000000006504: D1D3033E 04FBFBFC
	v_max3_f32 v62, |v254|, |v255|, v62                        // 00000000650C: D1D3033E 04FBFFFE
	buffer_load_dwordx4 a[108:111], v40, s[20:23], 0 offen     // 000000006514: E05C1000 80856C28
	ds_write_b32 v11, v62 offset:20992                         // 00000000651C: D81A5200 00003E0B
	v_sub_f32_e32 v63, v14, v18                                // 000000006524: 047E250E
	v_cndmask_b32_e64 v63, v63, 0, s[40:41]                    // 000000006528: D100003F 00A1013F
	v_mov_b32_e32 v14, v18                                     // 000000006530: 7E1C0312
	v_mul_f32_e32 v63, s64, v63                                // 000000006534: 0A7E7E40
	v_exp_f32_e32 v63, v63                                     // 000000006538: 7E7E413F
	s_waitcnt lgkmcnt(0)                                       // 00000000653C: BF8CC07F
	s_barrier                                                  // 000000006540: BF8A0000
	ds_read_b32 v80, v10 offset:20992                          // 000000006544: D86C5200 5000000A
	ds_read_b32 v81, v10 offset:21056                          // 00000000654C: D86C5240 5100000A
	ds_read_b32 v82, v10 offset:21120                          // 000000006554: D86C5280 5200000A
	ds_read_b32 v83, v10 offset:21184                          // 00000000655C: D86C52C0 5300000A
	ds_read_b32 v84, v10 offset:21248                          // 000000006564: D86C5300 5400000A
	ds_read_b32 v85, v10 offset:21312                          // 00000000656C: D86C5340 5500000A
	ds_read_b32 v86, v10 offset:21376                          // 000000006574: D86C5380 5600000A
	ds_read_b32 v87, v10 offset:21440                          // 00000000657C: D86C53C0 5700000A
	ds_read_b32 v88, v10 offset:21504                          // 000000006584: D86C5400 5800000A
	ds_read_b32 v89, v10 offset:21568                          // 00000000658C: D86C5440 5900000A
	ds_read_b32 v90, v10 offset:21632                          // 000000006594: D86C5480 5A00000A
	ds_read_b32 v91, v10 offset:21696                          // 00000000659C: D86C54C0 5B00000A
	ds_read_b32 v92, v10 offset:21760                          // 0000000065A4: D86C5500 5C00000A
	ds_read_b32 v93, v10 offset:21824                          // 0000000065AC: D86C5540 5D00000A
	ds_read_b32 v94, v10 offset:21888                          // 0000000065B4: D86C5580 5E00000A
	ds_read_b32 v95, v10 offset:21952                          // 0000000065BC: D86C55C0 5F00000A
	v_mul_f32_e32 v47, v63, v47                                // 0000000065C4: 0A5E5F3F
	v_mov_b32_e32 v18, v128                                    // 0000000065C8: 7E240380
	v_add_f32_e32 v18, v129, v18                               // 0000000065CC: 02242581
	v_add_f32_e32 v18, v130, v18                               // 0000000065D0: 02242582
	v_add_f32_e32 v18, v131, v18                               // 0000000065D4: 02242583
	v_add_f32_e32 v18, v132, v18                               // 0000000065D8: 02242584
	v_add_f32_e32 v18, v133, v18                               // 0000000065DC: 02242585
	v_add_f32_e32 v18, v134, v18                               // 0000000065E0: 02242586
	v_add_f32_e32 v18, v135, v18                               // 0000000065E4: 02242587
	v_add_f32_e32 v18, v136, v18                               // 0000000065E8: 02242588
	v_add_f32_e32 v18, v137, v18                               // 0000000065EC: 02242589
	v_add_f32_e32 v18, v138, v18                               // 0000000065F0: 0224258A
	v_add_f32_e32 v18, v139, v18                               // 0000000065F4: 0224258B
	v_add_f32_e32 v18, v140, v18                               // 0000000065F8: 0224258C
	v_add_f32_e32 v18, v141, v18                               // 0000000065FC: 0224258D
	v_add_f32_e32 v18, v142, v18                               // 000000006600: 0224258E
	v_add_f32_e32 v18, v143, v18                               // 000000006604: 0224258F
	v_add_f32_e32 v47, v18, v47                                // 000000006608: 025E5F12
	s_waitcnt lgkmcnt(0)                                       // 00000000660C: BF8CC07F
	v_max3_f32 v62, |v80|, |v81|, v62                          // 000000006610: D1D3033E 04FAA350
	v_max3_f32 v62, |v82|, |v83|, v62                          // 000000006618: D1D3033E 04FAA752
	v_max3_f32 v62, |v84|, |v85|, v62                          // 000000006620: D1D3033E 04FAAB54
	v_max3_f32 v62, |v86|, |v87|, v62                          // 000000006628: D1D3033E 04FAAF56
	v_max3_f32 v62, |v88|, |v89|, v62                          // 000000006630: D1D3033E 04FAB358
	v_max3_f32 v62, |v90|, |v91|, v62                          // 000000006638: D1D3033E 04FAB75A
	v_max3_f32 v62, |v92|, |v93|, v62                          // 000000006640: D1D3033E 04FABB5C
	v_max3_f32 v62, |v94|, |v95|, v62                          // 000000006648: D1D3033E 04FABF5E
	s_nop 2                                                    // 000000006650: BF800002
	v_rcp_f32_e32 v62, v62                                     // 000000006654: 7E7C453E
	s_nop 1                                                    // 000000006658: BF800001
	v_mul_f32_e32 v62, 0x43700000, v62                         // 00000000665C: 0A7C7CFF 43700000
	v_mul_f32_e32 v128, v62, v240                              // 000000006664: 0B01E13E
	v_mul_f32_e32 v129, v62, v241                              // 000000006668: 0B03E33E
	v_mul_f32_e32 v130, v62, v242                              // 00000000666C: 0B05E53E
	v_mul_f32_e32 v131, v62, v243                              // 000000006670: 0B07E73E
	v_mul_f32_e32 v132, v62, v244                              // 000000006674: 0B09E93E
	v_mul_f32_e32 v133, v62, v245                              // 000000006678: 0B0BEB3E
	v_mul_f32_e32 v134, v62, v246                              // 00000000667C: 0B0DED3E
	v_mul_f32_e32 v135, v62, v247                              // 000000006680: 0B0FEF3E
	v_mul_f32_e32 v136, v62, v248                              // 000000006684: 0B11F13E
	v_mul_f32_e32 v137, v62, v249                              // 000000006688: 0B13F33E
	v_mul_f32_e32 v138, v62, v250                              // 00000000668C: 0B15F53E
	v_mul_f32_e32 v139, v62, v251                              // 000000006690: 0B17F73E
	v_mul_f32_e32 v140, v62, v252                              // 000000006694: 0B19F93E
	v_mul_f32_e32 v141, v62, v253                              // 000000006698: 0B1BFB3E
	v_mul_f32_e32 v142, v62, v254                              // 00000000669C: 0B1DFD3E
	v_mul_f32_e32 v143, v62, v255                              // 0000000066A0: 0B1FFF3E
	v_cvt_pk_fp8_f32 v128, v128, v129                          // 0000000066A4: D2A20080 00030380
	v_cvt_pk_fp8_f32 v128, v130, v131 op_sel:[0,0,1]           // 0000000066AC: D2A24080 00030782
	v_cvt_pk_fp8_f32 v129, v132, v133                          // 0000000066B4: D2A20081 00030B84
	v_cvt_pk_fp8_f32 v129, v134, v135 op_sel:[0,0,1]           // 0000000066BC: D2A24081 00030F86
	v_cvt_pk_fp8_f32 v130, v136, v137                          // 0000000066C4: D2A20082 00031388
	v_cvt_pk_fp8_f32 v130, v138, v139 op_sel:[0,0,1]           // 0000000066CC: D2A24082 0003178A
	v_cvt_pk_fp8_f32 v131, v140, v141                          // 0000000066D4: D2A20083 00031B8C
	v_cvt_pk_fp8_f32 v131, v142, v143 op_sel:[0,0,1]           // 0000000066DC: D2A24083 00031F8E
	ds_write_b32 v13, v128 offset:25088                        // 0000000066E4: D81A6200 0000800D
	ds_write_b32 v13, v129 offset:26112                        // 0000000066EC: D81A6600 0000810D
	ds_write_b32 v13, v130 offset:27136                        // 0000000066F4: D81A6A00 0000820D
	ds_write_b32 v13, v131 offset:28160                        // 0000000066FC: D81A6E00 0000830D
	v_add_f32_e32 v224, v224, v192                             // 000000006704: 03C181E0
	v_add_f32_e32 v225, v225, v193                             // 000000006708: 03C383E1
	v_add_f32_e32 v226, v226, v194                             // 00000000670C: 03C585E2
	v_add_f32_e32 v227, v227, v195                             // 000000006710: 03C787E3
	v_add_f32_e32 v228, v228, v196                             // 000000006714: 03C989E4
	v_add_f32_e32 v229, v229, v197                             // 000000006718: 03CB8BE5
	v_add_f32_e32 v230, v230, v198                             // 00000000671C: 03CD8DE6
	v_add_f32_e32 v231, v231, v199                             // 000000006720: 03CF8FE7
	v_rcp_f32_e32 v58, v62                                     // 000000006724: 7E74453E
	s_waitcnt lgkmcnt(0)                                       // 000000006728: BF8CC07F
	s_barrier                                                  // 00000000672C: BF8A0000
	ds_read_b64 v[128:129], v12 offset:25088                   // 000000006730: D8EC6200 8000000C
	ds_read_b64 v[130:131], v12 offset:25216                   // 000000006738: D8EC6280 8200000C
	ds_read_b64 v[132:133], v12 offset:26112                   // 000000006740: D8EC6600 8400000C
	ds_read_b64 v[134:135], v12 offset:26240                   // 000000006748: D8EC6680 8600000C
	ds_read_b64 v[136:137], v12 offset:27136                   // 000000006750: D8EC6A00 8800000C
	ds_read_b64 v[138:139], v12 offset:27264                   // 000000006758: D8EC6A80 8A00000C
	ds_read_b64 v[140:141], v12 offset:28160                   // 000000006760: D8EC6E00 8C00000C
	ds_read_b64 v[142:143], v12 offset:28288                   // 000000006768: D8EC6E80 8E00000C
	s_waitcnt vmcnt(15)                                        // 000000006770: BF8C0F7F
	s_waitcnt lgkmcnt(7)                                       // 000000006774: BF8CC77F
	v_mfma_f32_16x16x32_fp8_fp8 v[192:195], a[64:65], v[128:129], 0// 000000006778: D3F300C0 0A030140
	s_waitcnt lgkmcnt(6)                                       // 000000006780: BF8CC67F
	v_mfma_f32_16x16x32_fp8_fp8 v[192:195], a[66:67], v[130:131], v[192:195]// 000000006784: D3F300C0 0F030542
	buffer_load_dwordx4 a[112:115], v37, s[20:23], 0 offen offset:1024// 00000000678C: E05C1400 80857025
	s_waitcnt lgkmcnt(5)                                       // 000000006794: BF8CC57F
	v_mfma_f32_16x16x32_fp8_fp8 v[192:195], a[68:69], v[132:133], v[192:195]// 000000006798: D3F300C0 0F030944
	s_waitcnt lgkmcnt(4)                                       // 0000000067A0: BF8CC47F
	v_mfma_f32_16x16x32_fp8_fp8 v[192:195], a[70:71], v[134:135], v[192:195]// 0000000067A4: D3F300C0 0F030D46
	s_waitcnt lgkmcnt(3)                                       // 0000000067AC: BF8CC37F
	v_mfma_f32_16x16x32_fp8_fp8 v[192:195], a[72:73], v[136:137], v[192:195]// 0000000067B0: D3F300C0 0F031148
	s_waitcnt lgkmcnt(2)                                       // 0000000067B8: BF8CC27F
	v_mfma_f32_16x16x32_fp8_fp8 v[192:195], a[74:75], v[138:139], v[192:195]// 0000000067BC: D3F300C0 0F03154A
	buffer_load_dwordx4 a[116:119], v38, s[20:23], 0 offen offset:1024// 0000000067C4: E05C1400 80857426
	s_waitcnt lgkmcnt(1)                                       // 0000000067CC: BF8CC17F
	v_mfma_f32_16x16x32_fp8_fp8 v[192:195], a[76:77], v[140:141], v[192:195]// 0000000067D0: D3F300C0 0F03194C
	s_waitcnt lgkmcnt(0)                                       // 0000000067D8: BF8CC07F
	v_mfma_f32_16x16x32_fp8_fp8 v[192:195], a[78:79], v[142:143], v[192:195]// 0000000067DC: D3F300C0 0F031D4E
	v_mfma_f32_16x16x32_fp8_fp8 v[196:199], a[80:81], v[128:129], 0// 0000000067E4: D3F300C4 0A030150
	v_mfma_f32_16x16x32_fp8_fp8 v[196:199], a[82:83], v[130:131], v[196:199]// 0000000067EC: D3F300C4 0F130552
	buffer_load_dwordx4 a[120:123], v39, s[20:23], 0 offen offset:1024// 0000000067F4: E05C1400 80857827
	v_mfma_f32_16x16x32_fp8_fp8 v[196:199], a[84:85], v[132:133], v[196:199]// 0000000067FC: D3F300C4 0F130954
	v_mfma_f32_16x16x32_fp8_fp8 v[196:199], a[86:87], v[134:135], v[196:199]// 000000006804: D3F300C4 0F130D56
	v_mfma_f32_16x16x32_fp8_fp8 v[196:199], a[88:89], v[136:137], v[196:199]// 00000000680C: D3F300C4 0F131158
	v_mfma_f32_16x16x32_fp8_fp8 v[196:199], a[90:91], v[138:139], v[196:199]// 000000006814: D3F300C4 0F13155A
	buffer_load_dwordx4 a[124:127], v40, s[20:23], 0 offen offset:1024// 00000000681C: E05C1400 80857C28
	v_mfma_f32_16x16x32_fp8_fp8 v[196:199], a[92:93], v[140:141], v[196:199]// 000000006824: D3F300C4 0F13195C
	s_lshr_b32 s57, s70, 4                                     // 00000000682C: 8F398446
	s_add_u32 s57, 48, s57                                     // 000000006830: 803939B0
	v_mfma_f32_16x16x32_fp8_fp8 v[196:199], a[94:95], v[142:143], v[196:199]// 000000006834: D3F300C4 0F131D5E
	s_cmp_ge_u32 s57, s73                                      // 00000000683C: BF094939
	s_cselect_b32 s56, 0, s56                                  // 000000006840: 85383880
	v_add_u32_e32 v1, s56, v1                                  // 000000006844: 68020238
	s_addk_i32 s70, 0x100                                      // 000000006848: B7460100
	s_cmp_lt_i32 s70, s71                                      // 00000000684C: BF044746
	s_cbranch_scc0 label_13E4                                  // 000000006850: BF84024F
	s_waitcnt vmcnt(8) lgkmcnt(0)                              // 000000006854: BF8C0078
	v_mul_u32_u24_dpp v41, v19, v68 row_newbcast:0 row_mask:0xf bank_mask:0xf// 000000006858: 105288FA FF015013
	v_mul_u32_u24_dpp v42, v19, v68 row_newbcast:4 row_mask:0xf bank_mask:0xf// 000000006860: 105488FA FF015413
	v_mul_u32_u24_dpp v43, v19, v68 row_newbcast:8 row_mask:0xf bank_mask:0xf// 000000006868: 105688FA FF015813
	v_mul_u32_u24_dpp v44, v19, v68 row_newbcast:12 row_mask:0xf bank_mask:0xf// 000000006870: 105888FA FF015C13
	v_add_u32_e32 v25, v41, v6                                 // 000000006878: 68320D29
	v_add_u32_e32 v26, v42, v6                                 // 00000000687C: 68340D2A
	v_add_u32_e32 v27, v43, v6                                 // 000000006880: 68360D2B
	v_add_u32_e32 v28, v44, v6                                 // 000000006884: 68380D2C
	v_mul_u32_u24_dpp v41, v19, v78 quad_perm:[0,0,0,0] row_mask:0xf bank_mask:0xf// 000000006888: 10529CFA FF000013
	v_add_u32_e32 v2, v41, v74                                 // 000000006890: 68049529
	v_mul_u32_u24_dpp v41, v19, v78 quad_perm:[0,0,0,0] row_mask:0xf bank_mask:0xf// 000000006894: 10529CFA FF000013
	v_add_u32_e32 v70, v41, v75                                // 00000000689C: 688C9729
	v_mfma_f32_16x16x32_fp8_fp8 v[128:131], a[32:33], v[96:97], 0// 0000000068A0: D3F30080 0A02C120
	v_mfma_f32_16x16x32_fp8_fp8 v[128:131], a[34:35], v[98:99], v[128:131]// 0000000068A8: D3F30080 0E02C522
	buffer_load_dwordx4 a[0:3], v25, s[16:19], 0 offen         // 0000000068B0: E05C1000 80840019
	v_mfma_f32_16x16x32_fp8_fp8 v[128:131], a[36:37], v[100:101], v[128:131]// 0000000068B8: D3F30080 0E02C924
	v_mfma_f32_16x16x32_fp8_fp8 v[128:131], a[38:39], v[102:103], v[128:131]// 0000000068C0: D3F30080 0E02CD26
	buffer_load_dword v20, v1, s[24:27], 0 offen               // 0000000068C8: E0501000 80061401
	v_mfma_f32_16x16x32_fp8_fp8 v[132:135], a[40:41], v[96:97], 0// 0000000068D0: D3F30084 0A02C128
	v_mfma_f32_16x16x32_fp8_fp8 v[132:135], a[42:43], v[98:99], v[132:135]// 0000000068D8: D3F30084 0E12C52A
	buffer_load_dwordx4 a[4:7], v25, s[16:19], 0 offen offset:1024// 0000000068E0: E05C1400 80840419
	v_mfma_f32_16x16x32_fp8_fp8 v[132:135], a[44:45], v[100:101], v[132:135]// 0000000068E8: D3F30084 0E12C92C
	v_mfma_f32_16x16x32_fp8_fp8 v[132:135], a[46:47], v[102:103], v[132:135]// 0000000068F0: D3F30084 0E12CD2E
	v_mfma_f32_16x16x32_fp8_fp8 v[136:139], a[48:49], v[96:97], 0// 0000000068F8: D3F30088 0A02C130
	v_mfma_f32_16x16x32_fp8_fp8 v[136:139], a[50:51], v[98:99], v[136:139]// 000000006900: D3F30088 0E22C532
	buffer_load_dwordx4 a[8:11], v26, s[16:19], 0 offen        // 000000006908: E05C1000 8084081A
	v_mfma_f32_16x16x32_fp8_fp8 v[136:139], a[52:53], v[100:101], v[136:139]// 000000006910: D3F30088 0E22C934
	v_mfma_f32_16x16x32_fp8_fp8 v[136:139], a[54:55], v[102:103], v[136:139]// 000000006918: D3F30088 0E22CD36
	v_mfma_f32_16x16x32_fp8_fp8 v[140:143], a[56:57], v[96:97], 0// 000000006920: D3F3008C 0A02C138
	v_mfma_f32_16x16x32_fp8_fp8 v[140:143], a[58:59], v[98:99], v[140:143]// 000000006928: D3F3008C 0E32C53A
	buffer_load_dwordx4 a[12:15], v26, s[16:19], 0 offen offset:1024// 000000006930: E05C1400 80840C1A
	v_mfma_f32_16x16x32_fp8_fp8 v[140:143], a[60:61], v[100:101], v[140:143]// 000000006938: D3F3008C 0E32C93C
	v_mfma_f32_16x16x32_fp8_fp8 v[140:143], a[62:63], v[102:103], v[140:143]// 000000006940: D3F3008C 0E32CD3E
	buffer_load_dword v52, v2, s[32:35], 0 offen               // 000000006948: E0501000 80083402
	v_mov_b32_dpp v41, v53 row_shr:4 row_mask:0xf bank_mask:0xf// 000000006950: 7E5202FA FF011435
	v_mov_b32_dpp v42, v53 row_shl:4 row_mask:0xf bank_mask:0xf// 000000006958: 7E5402FA FF010435
	v_cndmask_b32_e64 v248, v53, v41, s[44:45]                 // 000000006960: D10000F8 00B25335
	v_cndmask_b32_e64 v249, v42, v53, s[44:45]                 // 000000006968: D10000F9 00B26B2A
	v_mov_b32_dpp v41, v248 row_shr:8 row_mask:0xf bank_mask:0xf// 000000006970: 7E5202FA FF0118F8
	v_mov_b32_dpp v42, v248 row_shl:8 row_mask:0xf bank_mask:0xf// 000000006978: 7E5402FA FF0108F8
	v_mov_b32_dpp v43, v249 row_shr:8 row_mask:0xf bank_mask:0xf// 000000006980: 7E5602FA FF0118F9
	v_mov_b32_dpp v44, v249 row_shl:8 row_mask:0xf bank_mask:0xf// 000000006988: 7E5802FA FF0108F9
	v_mov_b32_e32 v45, v248                                    // 000000006990: 7E5A03F8
	v_mov_b32_e32 v46, v249                                    // 000000006994: 7E5C03F9
	v_cndmask_b32_e64 v248, v45, v41, s[42:43]                 // 000000006998: D10000F8 00AA532D
	v_cndmask_b32_e64 v250, v45, v42, s[78:79]                 // 0000000069A0: D10000FA 013A552D
	v_cndmask_b32_e64 v249, v46, v43, s[42:43]                 // 0000000069A8: D10000F9 00AA572E
	v_cndmask_b32_e64 v251, v46, v44, s[78:79]                 // 0000000069B0: D10000FB 013A592E
	v_mov_b32_dpp v41, v73 row_shr:4 row_mask:0xf bank_mask:0xf// 0000000069B8: 7E5202FA FF011449
	v_mov_b32_dpp v42, v73 row_shl:4 row_mask:0xf bank_mask:0xf// 0000000069C0: 7E5402FA FF010449
	v_cndmask_b32_e64 v252, v73, v41, s[44:45]                 // 0000000069C8: D10000FC 00B25349
	v_cndmask_b32_e64 v253, v42, v73, s[44:45]                 // 0000000069D0: D10000FD 00B2932A
	v_mov_b32_dpp v41, v252 row_shr:8 row_mask:0xf bank_mask:0xf// 0000000069D8: 7E5202FA FF0118FC
	v_mov_b32_dpp v42, v252 row_shl:8 row_mask:0xf bank_mask:0xf// 0000000069E0: 7E5402FA FF0108FC
	v_mov_b32_dpp v43, v253 row_shr:8 row_mask:0xf bank_mask:0xf// 0000000069E8: 7E5602FA FF0118FD
	v_mov_b32_dpp v44, v253 row_shl:8 row_mask:0xf bank_mask:0xf// 0000000069F0: 7E5802FA FF0108FD
	v_mov_b32_e32 v45, v252                                    // 0000000069F8: 7E5A03FC
	v_mov_b32_e32 v46, v253                                    // 0000000069FC: 7E5C03FD
	v_cndmask_b32_e64 v252, v45, v41, s[42:43]                 // 000000006A00: D10000FC 00AA532D
	v_cndmask_b32_e64 v254, v45, v42, s[78:79]                 // 000000006A08: D10000FE 013A552D
	v_cndmask_b32_e64 v253, v46, v43, s[42:43]                 // 000000006A10: D10000FD 00AA572E
	v_cndmask_b32_e64 v255, v46, v44, s[78:79]                 // 000000006A18: D10000FF 013A592E
	buffer_load_dword v72, v70, s[36:39], 0 offen              // 000000006A20: E0501000 80094846
	v_mul_f32_e32 v128, v54, v128                              // 000000006A28: 0B010136
	v_mul_f32_e32 v129, v54, v129                              // 000000006A2C: 0B030336
	v_mul_f32_e32 v130, v54, v130                              // 000000006A30: 0B050536
	v_mul_f32_e32 v131, v54, v131                              // 000000006A34: 0B070736
	v_mul_f32_e32 v132, v54, v132                              // 000000006A38: 0B090936
	v_mul_f32_e32 v133, v54, v133                              // 000000006A3C: 0B0B0B36
	v_mul_f32_e32 v134, v54, v134                              // 000000006A40: 0B0D0D36
	v_mul_f32_e32 v135, v54, v135                              // 000000006A44: 0B0F0F36
	v_mul_f32_e32 v136, v54, v136                              // 000000006A48: 0B111136
	v_mul_f32_e32 v137, v54, v137                              // 000000006A4C: 0B131336
	v_mul_f32_e32 v138, v54, v138                              // 000000006A50: 0B151536
	v_mul_f32_e32 v139, v54, v139                              // 000000006A54: 0B171736
	v_mul_f32_e32 v140, v54, v140                              // 000000006A58: 0B191936
	v_mul_f32_e32 v141, v54, v141                              // 000000006A5C: 0B1B1B36
	v_mul_f32_e32 v142, v54, v142                              // 000000006A60: 0B1D1D36
	v_mul_f32_e32 v143, v54, v143                              // 000000006A64: 0B1F1F36
	buffer_load_dwordx4 a[16:19], v27, s[16:19], 0 offen       // 000000006A68: E05C1000 8084101B
	v_mul_f32_dpp v128, v248, v128 quad_perm:[0,0,0,0] row_mask:0xf bank_mask:0xf// 000000006A70: 0B0100FA FF0000F8
	v_mul_f32_dpp v129, v248, v129 quad_perm:[1,1,1,1] row_mask:0xf bank_mask:0xf// 000000006A78: 0B0302FA FF0055F8
	v_mul_f32_dpp v130, v248, v130 quad_perm:[2,2,2,2] row_mask:0xf bank_mask:0xf// 000000006A80: 0B0504FA FF00AAF8
	v_mul_f32_dpp v131, v248, v131 quad_perm:[3,3,3,3] row_mask:0xf bank_mask:0xf// 000000006A88: 0B0706FA FF00FFF8
	v_mul_f32_dpp v132, v249, v132 quad_perm:[0,0,0,0] row_mask:0xf bank_mask:0xf// 000000006A90: 0B0908FA FF0000F9
	v_mul_f32_dpp v133, v249, v133 quad_perm:[1,1,1,1] row_mask:0xf bank_mask:0xf// 000000006A98: 0B0B0AFA FF0055F9
	v_mul_f32_dpp v134, v249, v134 quad_perm:[2,2,2,2] row_mask:0xf bank_mask:0xf// 000000006AA0: 0B0D0CFA FF00AAF9
	v_mul_f32_dpp v135, v249, v135 quad_perm:[3,3,3,3] row_mask:0xf bank_mask:0xf// 000000006AA8: 0B0F0EFA FF00FFF9
	v_mul_f32_dpp v136, v250, v136 quad_perm:[0,0,0,0] row_mask:0xf bank_mask:0xf// 000000006AB0: 0B1110FA FF0000FA
	v_mul_f32_dpp v137, v250, v137 quad_perm:[1,1,1,1] row_mask:0xf bank_mask:0xf// 000000006AB8: 0B1312FA FF0055FA
	v_mul_f32_dpp v138, v250, v138 quad_perm:[2,2,2,2] row_mask:0xf bank_mask:0xf// 000000006AC0: 0B1514FA FF00AAFA
	v_mul_f32_dpp v139, v250, v139 quad_perm:[3,3,3,3] row_mask:0xf bank_mask:0xf// 000000006AC8: 0B1716FA FF00FFFA
	v_mul_f32_dpp v140, v251, v140 quad_perm:[0,0,0,0] row_mask:0xf bank_mask:0xf// 000000006AD0: 0B1918FA FF0000FB
	v_mul_f32_dpp v141, v251, v141 quad_perm:[1,1,1,1] row_mask:0xf bank_mask:0xf// 000000006AD8: 0B1B1AFA FF0055FB
	v_mul_f32_dpp v142, v251, v142 quad_perm:[2,2,2,2] row_mask:0xf bank_mask:0xf// 000000006AE0: 0B1D1CFA FF00AAFB
	v_mul_f32_dpp v143, v251, v143 quad_perm:[3,3,3,3] row_mask:0xf bank_mask:0xf// 000000006AE8: 0B1F1EFA FF00FFFB
	buffer_load_dwordx4 a[20:23], v27, s[16:19], 0 offen offset:1024// 000000006AF0: E05C1400 8084141B
	v_mov_b32_e32 v62, v128                                    // 000000006AF8: 7E7C0380
	v_max3_f32 v62, v128, v129, v62                            // 000000006AFC: D1D3003E 04FB0380
	v_max3_f32 v62, v130, v131, v62                            // 000000006B04: D1D3003E 04FB0782
	v_max3_f32 v62, v132, v133, v62                            // 000000006B0C: D1D3003E 04FB0B84
	v_max3_f32 v62, v134, v135, v62                            // 000000006B14: D1D3003E 04FB0F86
	v_max3_f32 v62, v136, v137, v62                            // 000000006B1C: D1D3003E 04FB1388
	v_max3_f32 v62, v138, v139, v62                            // 000000006B24: D1D3003E 04FB178A
	v_max3_f32 v62, v140, v141, v62                            // 000000006B2C: D1D3003E 04FB1B8C
	v_max3_f32 v62, v142, v143, v62                            // 000000006B34: D1D3003E 04FB1F8E
	ds_write_b32 v11, v62 offset:16896                         // 000000006B3C: D81A4200 00003E0B
	buffer_load_dwordx4 a[24:27], v28, s[16:19], 0 offen       // 000000006B44: E05C1000 8084181C
	v_mul_u32_u24_dpp v41, v19, v68 row_newbcast:1 row_mask:0xf bank_mask:0xf// 000000006B4C: 105288FA FF015113
	v_mul_u32_u24_dpp v42, v19, v68 row_newbcast:5 row_mask:0xf bank_mask:0xf// 000000006B54: 105488FA FF015513
	v_mul_u32_u24_dpp v43, v19, v68 row_newbcast:9 row_mask:0xf bank_mask:0xf// 000000006B5C: 105688FA FF015913
	v_mul_u32_u24_dpp v44, v19, v68 row_newbcast:13 row_mask:0xf bank_mask:0xf// 000000006B64: 105888FA FF015D13
	v_add_u32_e32 v33, v41, v7                                 // 000000006B6C: 68420F29
	v_add_u32_e32 v34, v42, v7                                 // 000000006B70: 68440F2A
	v_add_u32_e32 v35, v43, v7                                 // 000000006B74: 68460F2B
	v_add_u32_e32 v36, v44, v7                                 // 000000006B78: 68480F2C
	v_mul_f32_e32 v224, v63, v224                              // 000000006B7C: 0BC1C13F
	v_mul_f32_e32 v225, v63, v225                              // 000000006B80: 0BC3C33F
	v_mul_f32_e32 v226, v63, v226                              // 000000006B84: 0BC5C53F
	v_mul_f32_e32 v227, v63, v227                              // 000000006B88: 0BC7C73F
	v_mul_f32_e32 v228, v63, v228                              // 000000006B8C: 0BC9C93F
	v_mul_f32_e32 v229, v63, v229                              // 000000006B90: 0BCBCB3F
	v_mul_f32_e32 v230, v63, v230                              // 000000006B94: 0BCDCD3F
	v_mul_f32_e32 v231, v63, v231                              // 000000006B98: 0BCFCF3F
	s_waitcnt lgkmcnt(0)                                       // 000000006B9C: BF8CC07F
	s_barrier                                                  // 000000006BA0: BF8A0000
	ds_read_b32 v80, v10 offset:16896                          // 000000006BA4: D86C4200 5000000A
	ds_read_b32 v81, v10 offset:16960                          // 000000006BAC: D86C4240 5100000A
	ds_read_b32 v82, v10 offset:17024                          // 000000006BB4: D86C4280 5200000A
	ds_read_b32 v83, v10 offset:17088                          // 000000006BBC: D86C42C0 5300000A
	ds_read_b32 v84, v10 offset:17152                          // 000000006BC4: D86C4300 5400000A
	ds_read_b32 v85, v10 offset:17216                          // 000000006BCC: D86C4340 5500000A
	ds_read_b32 v86, v10 offset:17280                          // 000000006BD4: D86C4380 5600000A
	ds_read_b32 v87, v10 offset:17344                          // 000000006BDC: D86C43C0 5700000A
	ds_read_b32 v88, v10 offset:17408                          // 000000006BE4: D86C4400 5800000A
	ds_read_b32 v89, v10 offset:17472                          // 000000006BEC: D86C4440 5900000A
	ds_read_b32 v90, v10 offset:17536                          // 000000006BF4: D86C4480 5A00000A
	ds_read_b32 v91, v10 offset:17600                          // 000000006BFC: D86C44C0 5B00000A
	ds_read_b32 v92, v10 offset:17664                          // 000000006C04: D86C4500 5C00000A
	ds_read_b32 v93, v10 offset:17728                          // 000000006C0C: D86C4540 5D00000A
	ds_read_b32 v94, v10 offset:17792                          // 000000006C14: D86C4580 5E00000A
	ds_read_b32 v95, v10 offset:17856                          // 000000006C1C: D86C45C0 5F00000A
	buffer_load_dwordx4 a[28:31], v28, s[16:19], 0 offen offset:1024// 000000006C24: E05C1400 80841C1C
	v_mul_f32_e32 v192, v58, v192                              // 000000006C2C: 0B81813A
	v_mul_f32_e32 v193, v58, v193                              // 000000006C30: 0B83833A
	v_mul_f32_e32 v194, v58, v194                              // 000000006C34: 0B85853A
	v_mul_f32_e32 v195, v58, v195                              // 000000006C38: 0B87873A
	v_mul_f32_e32 v196, v58, v196                              // 000000006C3C: 0B89893A
	v_mul_f32_e32 v197, v58, v197                              // 000000006C40: 0B8B8B3A
	v_mul_f32_e32 v198, v58, v198                              // 000000006C44: 0B8D8D3A
	v_mul_f32_e32 v199, v58, v199                              // 000000006C48: 0B8F8F3A
	s_waitcnt lgkmcnt(0)                                       // 000000006C4C: BF8CC07F
	v_max3_f32 v62, v80, v81, v62                              // 000000006C50: D1D3003E 04FAA350
	v_max3_f32 v62, v82, v83, v62                              // 000000006C58: D1D3003E 04FAA752
	v_max3_f32 v62, v84, v85, v62                              // 000000006C60: D1D3003E 04FAAB54
	v_max3_f32 v62, v86, v87, v62                              // 000000006C68: D1D3003E 04FAAF56
	v_max3_f32 v62, v88, v89, v62                              // 000000006C70: D1D3003E 04FAB358
	v_max3_f32 v62, v90, v91, v62                              // 000000006C78: D1D3003E 04FAB75A
	v_max3_f32 v62, v92, v93, v62                              // 000000006C80: D1D3003E 04FABB5C
	v_max3_f32 v62, v94, v95, v62                              // 000000006C88: D1D3003E 04FABF5E
	buffer_load_dwordx4 a[64:67], v33, s[20:23], 0 offen       // 000000006C90: E05C1000 80854021
	v_mov_b32_e32 v41, 0xff800000                              // 000000006C98: 7E5202FF FF800000
	v_cmp_eq_u32_e64 s[40:41], v41, v14                        // 000000006CA0: D0CA0028 00021D29
	s_nop 1                                                    // 000000006CA8: BF800001
	v_max_f32_e32 v18, v62, v14                                // 000000006CAC: 16241D3E
	v_mul_f32_e32 v67, s64, v18                                // 000000006CB0: 0A862440
	v_fma_f32 v128, v128, s64, -v67                            // 000000006CB4: D1CB0080 850C8180
	v_fma_f32 v129, v129, s64, -v67                            // 000000006CBC: D1CB0081 850C8181
	v_fma_f32 v130, v130, s64, -v67                            // 000000006CC4: D1CB0082 850C8182
	v_fma_f32 v131, v131, s64, -v67                            // 000000006CCC: D1CB0083 850C8183
	v_fma_f32 v132, v132, s64, -v67                            // 000000006CD4: D1CB0084 850C8184
	v_fma_f32 v133, v133, s64, -v67                            // 000000006CDC: D1CB0085 850C8185
	v_fma_f32 v134, v134, s64, -v67                            // 000000006CE4: D1CB0086 850C8186
	v_fma_f32 v135, v135, s64, -v67                            // 000000006CEC: D1CB0087 850C8187
	v_fma_f32 v136, v136, s64, -v67                            // 000000006CF4: D1CB0088 850C8188
	v_fma_f32 v137, v137, s64, -v67                            // 000000006CFC: D1CB0089 850C8189
	v_fma_f32 v138, v138, s64, -v67                            // 000000006D04: D1CB008A 850C818A
	v_fma_f32 v139, v139, s64, -v67                            // 000000006D0C: D1CB008B 850C818B
	v_fma_f32 v140, v140, s64, -v67                            // 000000006D14: D1CB008C 850C818C
	v_fma_f32 v141, v141, s64, -v67                            // 000000006D1C: D1CB008D 850C818D
	v_fma_f32 v142, v142, s64, -v67                            // 000000006D24: D1CB008E 850C818E
	v_fma_f32 v143, v143, s64, -v67                            // 000000006D2C: D1CB008F 850C818F
	buffer_load_dwordx4 a[68:71], v34, s[20:23], 0 offen       // 000000006D34: E05C1000 80854422
	v_exp_f32_e32 v128, v128                                   // 000000006D3C: 7F004180
	v_exp_f32_e32 v129, v129                                   // 000000006D40: 7F024181
	v_exp_f32_e32 v130, v130                                   // 000000006D44: 7F044182
	v_exp_f32_e32 v131, v131                                   // 000000006D48: 7F064183
	v_exp_f32_e32 v132, v132                                   // 000000006D4C: 7F084184
	v_exp_f32_e32 v133, v133                                   // 000000006D50: 7F0A4185
	v_exp_f32_e32 v134, v134                                   // 000000006D54: 7F0C4186
	v_exp_f32_e32 v135, v135                                   // 000000006D58: 7F0E4187
	v_exp_f32_e32 v136, v136                                   // 000000006D5C: 7F104188
	v_exp_f32_e32 v137, v137                                   // 000000006D60: 7F124189
	v_exp_f32_e32 v138, v138                                   // 000000006D64: 7F14418A
	v_exp_f32_e32 v139, v139                                   // 000000006D68: 7F16418B
	v_exp_f32_e32 v140, v140                                   // 000000006D6C: 7F18418C
	v_exp_f32_e32 v141, v141                                   // 000000006D70: 7F1A418D
	v_exp_f32_e32 v142, v142                                   // 000000006D74: 7F1C418E
	v_exp_f32_e32 v143, v143                                   // 000000006D78: 7F1E418F
	buffer_load_dwordx4 a[72:75], v35, s[20:23], 0 offen       // 000000006D7C: E05C1000 80854823
	v_mul_f32_dpp v240, v252, v128 quad_perm:[0,0,0,0] row_mask:0xf bank_mask:0xf// 000000006D84: 0BE100FA FF0000FC
	v_mul_f32_dpp v241, v252, v129 quad_perm:[1,1,1,1] row_mask:0xf bank_mask:0xf// 000000006D8C: 0BE302FA FF0055FC
	v_mul_f32_dpp v242, v252, v130 quad_perm:[2,2,2,2] row_mask:0xf bank_mask:0xf// 000000006D94: 0BE504FA FF00AAFC
	v_mul_f32_dpp v243, v252, v131 quad_perm:[3,3,3,3] row_mask:0xf bank_mask:0xf// 000000006D9C: 0BE706FA FF00FFFC
	v_mul_f32_dpp v244, v253, v132 quad_perm:[0,0,0,0] row_mask:0xf bank_mask:0xf// 000000006DA4: 0BE908FA FF0000FD
	v_mul_f32_dpp v245, v253, v133 quad_perm:[1,1,1,1] row_mask:0xf bank_mask:0xf// 000000006DAC: 0BEB0AFA FF0055FD
	v_mul_f32_dpp v246, v253, v134 quad_perm:[2,2,2,2] row_mask:0xf bank_mask:0xf// 000000006DB4: 0BED0CFA FF00AAFD
	v_mul_f32_dpp v247, v253, v135 quad_perm:[3,3,3,3] row_mask:0xf bank_mask:0xf// 000000006DBC: 0BEF0EFA FF00FFFD
	v_mul_f32_dpp v248, v254, v136 quad_perm:[0,0,0,0] row_mask:0xf bank_mask:0xf// 000000006DC4: 0BF110FA FF0000FE
	v_mul_f32_dpp v249, v254, v137 quad_perm:[1,1,1,1] row_mask:0xf bank_mask:0xf// 000000006DCC: 0BF312FA FF0055FE
	v_mul_f32_dpp v250, v254, v138 quad_perm:[2,2,2,2] row_mask:0xf bank_mask:0xf// 000000006DD4: 0BF514FA FF00AAFE
	v_mul_f32_dpp v251, v254, v139 quad_perm:[3,3,3,3] row_mask:0xf bank_mask:0xf// 000000006DDC: 0BF716FA FF00FFFE
	v_mul_f32_dpp v252, v255, v140 quad_perm:[0,0,0,0] row_mask:0xf bank_mask:0xf// 000000006DE4: 0BF918FA FF0000FF
	v_mul_f32_dpp v253, v255, v141 quad_perm:[1,1,1,1] row_mask:0xf bank_mask:0xf// 000000006DEC: 0BFB1AFA FF0055FF
	v_mul_f32_dpp v254, v255, v142 quad_perm:[2,2,2,2] row_mask:0xf bank_mask:0xf// 000000006DF4: 0BFD1CFA FF00AAFF
	v_mul_f32_dpp v255, v255, v143 quad_perm:[3,3,3,3] row_mask:0xf bank_mask:0xf// 000000006DFC: 0BFF1EFA FF00FFFF
	v_mov_b32_e32 v62, 0x358637bd                              // 000000006E04: 7E7C02FF 358637BD
	v_max3_f32 v62, |v240|, |v241|, v62                        // 000000006E0C: D1D3033E 04FBE3F0
	v_max3_f32 v62, |v242|, |v243|, v62                        // 000000006E14: D1D3033E 04FBE7F2
	v_max3_f32 v62, |v244|, |v245|, v62                        // 000000006E1C: D1D3033E 04FBEBF4
	v_max3_f32 v62, |v246|, |v247|, v62                        // 000000006E24: D1D3033E 04FBEFF6
	v_max3_f32 v62, |v248|, |v249|, v62                        // 000000006E2C: D1D3033E 04FBF3F8
	v_max3_f32 v62, |v250|, |v251|, v62                        // 000000006E34: D1D3033E 04FBF7FA
	v_max3_f32 v62, |v252|, |v253|, v62                        // 000000006E3C: D1D3033E 04FBFBFC
	v_max3_f32 v62, |v254|, |v255|, v62                        // 000000006E44: D1D3033E 04FBFFFE
	buffer_load_dwordx4 a[76:79], v36, s[20:23], 0 offen       // 000000006E4C: E05C1000 80854C24
	ds_write_b32 v11, v62 offset:20992                         // 000000006E54: D81A5200 00003E0B
	v_sub_f32_e32 v63, v14, v18                                // 000000006E5C: 047E250E
	v_cndmask_b32_e64 v63, v63, 0, s[40:41]                    // 000000006E60: D100003F 00A1013F
	v_mov_b32_e32 v14, v18                                     // 000000006E68: 7E1C0312
	v_mul_f32_e32 v63, s64, v63                                // 000000006E6C: 0A7E7E40
	v_exp_f32_e32 v63, v63                                     // 000000006E70: 7E7E413F
	s_waitcnt lgkmcnt(0)                                       // 000000006E74: BF8CC07F
	s_barrier                                                  // 000000006E78: BF8A0000
	ds_read_b32 v80, v10 offset:20992                          // 000000006E7C: D86C5200 5000000A
	ds_read_b32 v81, v10 offset:21056                          // 000000006E84: D86C5240 5100000A
	ds_read_b32 v82, v10 offset:21120                          // 000000006E8C: D86C5280 5200000A
	ds_read_b32 v83, v10 offset:21184                          // 000000006E94: D86C52C0 5300000A
	ds_read_b32 v84, v10 offset:21248                          // 000000006E9C: D86C5300 5400000A
	ds_read_b32 v85, v10 offset:21312                          // 000000006EA4: D86C5340 5500000A
	ds_read_b32 v86, v10 offset:21376                          // 000000006EAC: D86C5380 5600000A
	ds_read_b32 v87, v10 offset:21440                          // 000000006EB4: D86C53C0 5700000A
	ds_read_b32 v88, v10 offset:21504                          // 000000006EBC: D86C5400 5800000A
	ds_read_b32 v89, v10 offset:21568                          // 000000006EC4: D86C5440 5900000A
	ds_read_b32 v90, v10 offset:21632                          // 000000006ECC: D86C5480 5A00000A
	ds_read_b32 v91, v10 offset:21696                          // 000000006ED4: D86C54C0 5B00000A
	ds_read_b32 v92, v10 offset:21760                          // 000000006EDC: D86C5500 5C00000A
	ds_read_b32 v93, v10 offset:21824                          // 000000006EE4: D86C5540 5D00000A
	ds_read_b32 v94, v10 offset:21888                          // 000000006EEC: D86C5580 5E00000A
	ds_read_b32 v95, v10 offset:21952                          // 000000006EF4: D86C55C0 5F00000A
	v_mul_f32_e32 v47, v63, v47                                // 000000006EFC: 0A5E5F3F
	v_mov_b32_e32 v18, v128                                    // 000000006F00: 7E240380
	v_add_f32_e32 v18, v129, v18                               // 000000006F04: 02242581
	v_add_f32_e32 v18, v130, v18                               // 000000006F08: 02242582
	v_add_f32_e32 v18, v131, v18                               // 000000006F0C: 02242583
	v_add_f32_e32 v18, v132, v18                               // 000000006F10: 02242584
	v_add_f32_e32 v18, v133, v18                               // 000000006F14: 02242585
	v_add_f32_e32 v18, v134, v18                               // 000000006F18: 02242586
	v_add_f32_e32 v18, v135, v18                               // 000000006F1C: 02242587
	v_add_f32_e32 v18, v136, v18                               // 000000006F20: 02242588
	v_add_f32_e32 v18, v137, v18                               // 000000006F24: 02242589
	v_add_f32_e32 v18, v138, v18                               // 000000006F28: 0224258A
	v_add_f32_e32 v18, v139, v18                               // 000000006F2C: 0224258B
	v_add_f32_e32 v18, v140, v18                               // 000000006F30: 0224258C
	v_add_f32_e32 v18, v141, v18                               // 000000006F34: 0224258D
	v_add_f32_e32 v18, v142, v18                               // 000000006F38: 0224258E
	v_add_f32_e32 v18, v143, v18                               // 000000006F3C: 0224258F
	v_add_f32_e32 v47, v18, v47                                // 000000006F40: 025E5F12
	s_waitcnt lgkmcnt(0)                                       // 000000006F44: BF8CC07F
	v_max3_f32 v62, |v80|, |v81|, v62                          // 000000006F48: D1D3033E 04FAA350
	v_max3_f32 v62, |v82|, |v83|, v62                          // 000000006F50: D1D3033E 04FAA752
	v_max3_f32 v62, |v84|, |v85|, v62                          // 000000006F58: D1D3033E 04FAAB54
	v_max3_f32 v62, |v86|, |v87|, v62                          // 000000006F60: D1D3033E 04FAAF56
	v_max3_f32 v62, |v88|, |v89|, v62                          // 000000006F68: D1D3033E 04FAB358
	v_max3_f32 v62, |v90|, |v91|, v62                          // 000000006F70: D1D3033E 04FAB75A
	v_max3_f32 v62, |v92|, |v93|, v62                          // 000000006F78: D1D3033E 04FABB5C
	v_max3_f32 v62, |v94|, |v95|, v62                          // 000000006F80: D1D3033E 04FABF5E
	s_nop 2                                                    // 000000006F88: BF800002
	v_rcp_f32_e32 v62, v62                                     // 000000006F8C: 7E7C453E
	s_nop 1                                                    // 000000006F90: BF800001
	v_mul_f32_e32 v62, 0x43700000, v62                         // 000000006F94: 0A7C7CFF 43700000
	v_mul_f32_e32 v128, v62, v240                              // 000000006F9C: 0B01E13E
	v_mul_f32_e32 v129, v62, v241                              // 000000006FA0: 0B03E33E
	v_mul_f32_e32 v130, v62, v242                              // 000000006FA4: 0B05E53E
	v_mul_f32_e32 v131, v62, v243                              // 000000006FA8: 0B07E73E
	v_mul_f32_e32 v132, v62, v244                              // 000000006FAC: 0B09E93E
	v_mul_f32_e32 v133, v62, v245                              // 000000006FB0: 0B0BEB3E
	v_mul_f32_e32 v134, v62, v246                              // 000000006FB4: 0B0DED3E
	v_mul_f32_e32 v135, v62, v247                              // 000000006FB8: 0B0FEF3E
	v_mul_f32_e32 v136, v62, v248                              // 000000006FBC: 0B11F13E
	v_mul_f32_e32 v137, v62, v249                              // 000000006FC0: 0B13F33E
	v_mul_f32_e32 v138, v62, v250                              // 000000006FC4: 0B15F53E
	v_mul_f32_e32 v139, v62, v251                              // 000000006FC8: 0B17F73E
	v_mul_f32_e32 v140, v62, v252                              // 000000006FCC: 0B19F93E
	v_mul_f32_e32 v141, v62, v253                              // 000000006FD0: 0B1BFB3E
	v_mul_f32_e32 v142, v62, v254                              // 000000006FD4: 0B1DFD3E
	v_mul_f32_e32 v143, v62, v255                              // 000000006FD8: 0B1FFF3E
	v_cvt_pk_fp8_f32 v128, v128, v129                          // 000000006FDC: D2A20080 00030380
	v_cvt_pk_fp8_f32 v128, v130, v131 op_sel:[0,0,1]           // 000000006FE4: D2A24080 00030782
	v_cvt_pk_fp8_f32 v129, v132, v133                          // 000000006FEC: D2A20081 00030B84
	v_cvt_pk_fp8_f32 v129, v134, v135 op_sel:[0,0,1]           // 000000006FF4: D2A24081 00030F86
	v_cvt_pk_fp8_f32 v130, v136, v137                          // 000000006FFC: D2A20082 00031388
	v_cvt_pk_fp8_f32 v130, v138, v139 op_sel:[0,0,1]           // 000000007004: D2A24082 0003178A
	v_cvt_pk_fp8_f32 v131, v140, v141                          // 00000000700C: D2A20083 00031B8C
	v_cvt_pk_fp8_f32 v131, v142, v143 op_sel:[0,0,1]           // 000000007014: D2A24083 00031F8E
	ds_write_b32 v13, v128 offset:25088                        // 00000000701C: D81A6200 0000800D
	ds_write_b32 v13, v129 offset:26112                        // 000000007024: D81A6600 0000810D
	ds_write_b32 v13, v130 offset:27136                        // 00000000702C: D81A6A00 0000820D
	ds_write_b32 v13, v131 offset:28160                        // 000000007034: D81A6E00 0000830D
	v_add_f32_e32 v224, v224, v192                             // 00000000703C: 03C181E0
	v_add_f32_e32 v225, v225, v193                             // 000000007040: 03C383E1
	v_add_f32_e32 v226, v226, v194                             // 000000007044: 03C585E2
	v_add_f32_e32 v227, v227, v195                             // 000000007048: 03C787E3
	v_add_f32_e32 v228, v228, v196                             // 00000000704C: 03C989E4
	v_add_f32_e32 v229, v229, v197                             // 000000007050: 03CB8BE5
	v_add_f32_e32 v230, v230, v198                             // 000000007054: 03CD8DE6
	v_add_f32_e32 v231, v231, v199                             // 000000007058: 03CF8FE7
	v_rcp_f32_e32 v58, v62                                     // 00000000705C: 7E74453E
	s_waitcnt lgkmcnt(0)                                       // 000000007060: BF8CC07F
	s_barrier                                                  // 000000007064: BF8A0000
	ds_read_b64 v[128:129], v12 offset:25088                   // 000000007068: D8EC6200 8000000C
	ds_read_b64 v[130:131], v12 offset:25216                   // 000000007070: D8EC6280 8200000C
	ds_read_b64 v[132:133], v12 offset:26112                   // 000000007078: D8EC6600 8400000C
	ds_read_b64 v[134:135], v12 offset:26240                   // 000000007080: D8EC6680 8600000C
	ds_read_b64 v[136:137], v12 offset:27136                   // 000000007088: D8EC6A00 8800000C
	ds_read_b64 v[138:139], v12 offset:27264                   // 000000007090: D8EC6A80 8A00000C
	ds_read_b64 v[140:141], v12 offset:28160                   // 000000007098: D8EC6E00 8C00000C
	ds_read_b64 v[142:143], v12 offset:28288                   // 0000000070A0: D8EC6E80 8E00000C
	s_waitcnt vmcnt(15)                                        // 0000000070A8: BF8C0F7F
	s_waitcnt lgkmcnt(7)                                       // 0000000070AC: BF8CC77F
	v_mfma_f32_16x16x32_fp8_fp8 v[192:195], a[96:97], v[128:129], 0// 0000000070B0: D3F300C0 0A030160
	s_waitcnt lgkmcnt(6)                                       // 0000000070B8: BF8CC67F
	v_mfma_f32_16x16x32_fp8_fp8 v[192:195], a[98:99], v[130:131], v[192:195]// 0000000070BC: D3F300C0 0F030562
	buffer_load_dwordx4 a[80:83], v33, s[20:23], 0 offen offset:1024// 0000000070C4: E05C1400 80855021
	s_waitcnt lgkmcnt(5)                                       // 0000000070CC: BF8CC57F
	v_mfma_f32_16x16x32_fp8_fp8 v[192:195], a[100:101], v[132:133], v[192:195]// 0000000070D0: D3F300C0 0F030964
	s_waitcnt lgkmcnt(4)                                       // 0000000070D8: BF8CC47F
	v_mfma_f32_16x16x32_fp8_fp8 v[192:195], a[102:103], v[134:135], v[192:195]// 0000000070DC: D3F300C0 0F030D66
	s_waitcnt lgkmcnt(3)                                       // 0000000070E4: BF8CC37F
	v_mfma_f32_16x16x32_fp8_fp8 v[192:195], a[104:105], v[136:137], v[192:195]// 0000000070E8: D3F300C0 0F031168
	s_waitcnt lgkmcnt(2)                                       // 0000000070F0: BF8CC27F
	v_mfma_f32_16x16x32_fp8_fp8 v[192:195], a[106:107], v[138:139], v[192:195]// 0000000070F4: D3F300C0 0F03156A
	buffer_load_dwordx4 a[84:87], v34, s[20:23], 0 offen offset:1024// 0000000070FC: E05C1400 80855422
	s_waitcnt lgkmcnt(1)                                       // 000000007104: BF8CC17F
	v_mfma_f32_16x16x32_fp8_fp8 v[192:195], a[108:109], v[140:141], v[192:195]// 000000007108: D3F300C0 0F03196C
	s_waitcnt lgkmcnt(0)                                       // 000000007110: BF8CC07F
	v_mfma_f32_16x16x32_fp8_fp8 v[192:195], a[110:111], v[142:143], v[192:195]// 000000007114: D3F300C0 0F031D6E
	v_mfma_f32_16x16x32_fp8_fp8 v[196:199], a[112:113], v[128:129], 0// 00000000711C: D3F300C4 0A030170
	v_mfma_f32_16x16x32_fp8_fp8 v[196:199], a[114:115], v[130:131], v[196:199]// 000000007124: D3F300C4 0F130572
	buffer_load_dwordx4 a[88:91], v35, s[20:23], 0 offen offset:1024// 00000000712C: E05C1400 80855823
	v_mfma_f32_16x16x32_fp8_fp8 v[196:199], a[116:117], v[132:133], v[196:199]// 000000007134: D3F300C4 0F130974
	v_mfma_f32_16x16x32_fp8_fp8 v[196:199], a[118:119], v[134:135], v[196:199]// 00000000713C: D3F300C4 0F130D76
	v_mfma_f32_16x16x32_fp8_fp8 v[196:199], a[120:121], v[136:137], v[196:199]// 000000007144: D3F300C4 0F131178
	v_mfma_f32_16x16x32_fp8_fp8 v[196:199], a[122:123], v[138:139], v[196:199]// 00000000714C: D3F300C4 0F13157A
	buffer_load_dwordx4 a[92:95], v36, s[20:23], 0 offen offset:1024// 000000007154: E05C1400 80855C24
	v_mfma_f32_16x16x32_fp8_fp8 v[196:199], a[124:125], v[140:141], v[196:199]// 00000000715C: D3F300C4 0F13197C
	s_lshr_b32 s57, s70, 4                                     // 000000007164: 8F398446
	s_add_u32 s57, 48, s57                                     // 000000007168: 803939B0
	v_mfma_f32_16x16x32_fp8_fp8 v[196:199], a[126:127], v[142:143], v[196:199]// 00000000716C: D3F300C4 0F131D7E
	s_cmp_ge_u32 s57, s73                                      // 000000007174: BF094939
	s_cselect_b32 s56, 0, s56                                  // 000000007178: 85383880
	v_add_u32_e32 v1, s56, v1                                  // 00000000717C: 68020238
	s_addk_i32 s70, 0x100                                      // 000000007180: B7460100
	s_cmp_lt_i32 s70, s71                                      // 000000007184: BF044746
	s_cbranch_scc0 label_13E4                                  // 000000007188: BF840001
	s_branch label_0F47                                        // 00000000718C: BF82FB63

0000000000007190 <label_13E4>:
	s_nop 0                                                    // 000000007190: BF800000
	s_nop 0                                                    // 000000007194: BF800000
	s_branch label_1884                                        // 000000007198: BF82049D

000000000000719c <label_13E7>:
	s_waitcnt vmcnt(8) lgkmcnt(0)                              // 00000000719C: BF8C0078
	v_mul_u32_u24_dpp v41, v20, v68 row_newbcast:0 row_mask:0xf bank_mask:0xf// 0000000071A0: 105288FA FF015014
	v_mul_u32_u24_dpp v42, v20, v68 row_newbcast:4 row_mask:0xf bank_mask:0xf// 0000000071A8: 105488FA FF015414
	v_mul_u32_u24_dpp v43, v20, v68 row_newbcast:8 row_mask:0xf bank_mask:0xf// 0000000071B0: 105688FA FF015814
	v_mul_u32_u24_dpp v44, v20, v68 row_newbcast:12 row_mask:0xf bank_mask:0xf// 0000000071B8: 105888FA FF015C14
	v_add_u32_e32 v29, v41, v6                                 // 0000000071C0: 683A0D29
	v_add_u32_e32 v30, v42, v6                                 // 0000000071C4: 683C0D2A
	v_add_u32_e32 v31, v43, v6                                 // 0000000071C8: 683E0D2B
	v_add_u32_e32 v32, v44, v6                                 // 0000000071CC: 68400D2C
	v_mul_u32_u24_dpp v41, v20, v78 quad_perm:[0,0,0,0] row_mask:0xf bank_mask:0xf// 0000000071D0: 10529CFA FF000014
	v_add_u32_e32 v3, v41, v74                                 // 0000000071D8: 68069529
	v_mul_u32_u24_dpp v41, v20, v78 quad_perm:[0,0,0,0] row_mask:0xf bank_mask:0xf// 0000000071DC: 10529CFA FF000014
	v_add_u32_e32 v71, v41, v75                                // 0000000071E4: 688E9729
	v_mfma_f32_16x16x32_fp8_fp8 v[128:131], a[0:1], v[96:97], 0// 0000000071E8: D3F30080 0A02C100
	buffer_load_dwordx4 a[32:35], v29, s[16:19], 0 offen       // 0000000071F0: E05C1000 8084201D
	v_mfma_f32_16x16x32_fp8_fp8 v[128:131], a[2:3], v[98:99], v[128:131]// 0000000071F8: D3F30080 0E02C502
	v_mfma_f32_16x16x32_fp8_fp8 v[128:131], a[4:5], v[100:101], v[128:131]// 000000007200: D3F30080 0E02C904
	buffer_load_dword v19, v1, s[24:27], 0 offen               // 000000007208: E0501000 80061301
	v_mfma_f32_16x16x32_fp8_fp8 v[128:131], a[6:7], v[102:103], v[128:131]// 000000007210: D3F30080 0E02CD06
	v_mfma_f32_16x16x32_fp8_fp8 v[132:135], a[8:9], v[96:97], 0// 000000007218: D3F30084 0A02C108
	buffer_load_dwordx4 a[36:39], v29, s[16:19], 0 offen offset:1024// 000000007220: E05C1400 8084241D
	v_mfma_f32_16x16x32_fp8_fp8 v[132:135], a[10:11], v[98:99], v[132:135]// 000000007228: D3F30084 0E12C50A
	v_mfma_f32_16x16x32_fp8_fp8 v[132:135], a[12:13], v[100:101], v[132:135]// 000000007230: D3F30084 0E12C90C
	v_mfma_f32_16x16x32_fp8_fp8 v[132:135], a[14:15], v[102:103], v[132:135]// 000000007238: D3F30084 0E12CD0E
	v_mfma_f32_16x16x32_fp8_fp8 v[136:139], a[16:17], v[96:97], 0// 000000007240: D3F30088 0A02C110
	buffer_load_dwordx4 a[40:43], v30, s[16:19], 0 offen       // 000000007248: E05C1000 8084281E
	v_mfma_f32_16x16x32_fp8_fp8 v[136:139], a[18:19], v[98:99], v[136:139]// 000000007250: D3F30088 0E22C512
	v_mfma_f32_16x16x32_fp8_fp8 v[136:139], a[20:21], v[100:101], v[136:139]// 000000007258: D3F30088 0E22C914
	v_mfma_f32_16x16x32_fp8_fp8 v[136:139], a[22:23], v[102:103], v[136:139]// 000000007260: D3F30088 0E22CD16
	v_mfma_f32_16x16x32_fp8_fp8 v[140:143], a[24:25], v[96:97], 0// 000000007268: D3F3008C 0A02C118
	buffer_load_dwordx4 a[44:47], v30, s[16:19], 0 offen offset:1024// 000000007270: E05C1400 80842C1E
	v_mfma_f32_16x16x32_fp8_fp8 v[140:143], a[26:27], v[98:99], v[140:143]// 000000007278: D3F3008C 0E32C51A
	v_mfma_f32_16x16x32_fp8_fp8 v[140:143], a[28:29], v[100:101], v[140:143]// 000000007280: D3F3008C 0E32C91C
	v_mfma_f32_16x16x32_fp8_fp8 v[140:143], a[30:31], v[102:103], v[140:143]// 000000007288: D3F3008C 0E32CD1E
	buffer_load_dword v53, v3, s[32:35], 0 offen               // 000000007290: E0501000 80083503
	v_mov_b32_dpp v41, v52 row_shr:4 row_mask:0xf bank_mask:0xf// 000000007298: 7E5202FA FF011434
	v_mov_b32_dpp v42, v52 row_shl:4 row_mask:0xf bank_mask:0xf// 0000000072A0: 7E5402FA FF010434
	v_cndmask_b32_e64 v248, v52, v41, s[44:45]                 // 0000000072A8: D10000F8 00B25334
	v_cndmask_b32_e64 v249, v42, v52, s[44:45]                 // 0000000072B0: D10000F9 00B2692A
	v_mov_b32_dpp v41, v248 row_shr:8 row_mask:0xf bank_mask:0xf// 0000000072B8: 7E5202FA FF0118F8
	v_mov_b32_dpp v42, v248 row_shl:8 row_mask:0xf bank_mask:0xf// 0000000072C0: 7E5402FA FF0108F8
	v_mov_b32_dpp v43, v249 row_shr:8 row_mask:0xf bank_mask:0xf// 0000000072C8: 7E5602FA FF0118F9
	v_mov_b32_dpp v44, v249 row_shl:8 row_mask:0xf bank_mask:0xf// 0000000072D0: 7E5802FA FF0108F9
	v_mov_b32_e32 v45, v248                                    // 0000000072D8: 7E5A03F8
	v_mov_b32_e32 v46, v249                                    // 0000000072DC: 7E5C03F9
	v_cndmask_b32_e64 v248, v45, v41, s[42:43]                 // 0000000072E0: D10000F8 00AA532D
	v_cndmask_b32_e64 v250, v45, v42, s[78:79]                 // 0000000072E8: D10000FA 013A552D
	v_cndmask_b32_e64 v249, v46, v43, s[42:43]                 // 0000000072F0: D10000F9 00AA572E
	v_cndmask_b32_e64 v251, v46, v44, s[78:79]                 // 0000000072F8: D10000FB 013A592E
	v_mov_b32_dpp v41, v72 row_shr:4 row_mask:0xf bank_mask:0xf// 000000007300: 7E5202FA FF011448
	v_mov_b32_dpp v42, v72 row_shl:4 row_mask:0xf bank_mask:0xf// 000000007308: 7E5402FA FF010448
	v_cndmask_b32_e64 v252, v72, v41, s[44:45]                 // 000000007310: D10000FC 00B25348
	v_cndmask_b32_e64 v253, v42, v72, s[44:45]                 // 000000007318: D10000FD 00B2912A
	v_mov_b32_dpp v41, v252 row_shr:8 row_mask:0xf bank_mask:0xf// 000000007320: 7E5202FA FF0118FC
	v_mov_b32_dpp v42, v252 row_shl:8 row_mask:0xf bank_mask:0xf// 000000007328: 7E5402FA FF0108FC
	v_mov_b32_dpp v43, v253 row_shr:8 row_mask:0xf bank_mask:0xf// 000000007330: 7E5602FA FF0118FD
	v_mov_b32_dpp v44, v253 row_shl:8 row_mask:0xf bank_mask:0xf// 000000007338: 7E5802FA FF0108FD
	v_mov_b32_e32 v45, v252                                    // 000000007340: 7E5A03FC
	v_mov_b32_e32 v46, v253                                    // 000000007344: 7E5C03FD
	v_cndmask_b32_e64 v252, v45, v41, s[42:43]                 // 000000007348: D10000FC 00AA532D
	v_cndmask_b32_e64 v254, v45, v42, s[78:79]                 // 000000007350: D10000FE 013A552D
	v_cndmask_b32_e64 v253, v46, v43, s[42:43]                 // 000000007358: D10000FD 00AA572E
	v_cndmask_b32_e64 v255, v46, v44, s[78:79]                 // 000000007360: D10000FF 013A592E
	buffer_load_dword v73, v71, s[36:39], 0 offen              // 000000007368: E0501000 80094947
	v_mul_f32_e32 v128, v54, v128                              // 000000007370: 0B010136
	v_mul_f32_e32 v129, v54, v129                              // 000000007374: 0B030336
	v_mul_f32_e32 v130, v54, v130                              // 000000007378: 0B050536
	v_mul_f32_e32 v131, v54, v131                              // 00000000737C: 0B070736
	v_mul_f32_e32 v132, v54, v132                              // 000000007380: 0B090936
	v_mul_f32_e32 v133, v54, v133                              // 000000007384: 0B0B0B36
	v_mul_f32_e32 v134, v54, v134                              // 000000007388: 0B0D0D36
	v_mul_f32_e32 v135, v54, v135                              // 00000000738C: 0B0F0F36
	v_mul_f32_e32 v136, v54, v136                              // 000000007390: 0B111136
	v_mul_f32_e32 v137, v54, v137                              // 000000007394: 0B131336
	v_mul_f32_e32 v138, v54, v138                              // 000000007398: 0B151536
	v_mul_f32_e32 v139, v54, v139                              // 00000000739C: 0B171736
	v_mul_f32_e32 v140, v54, v140                              // 0000000073A0: 0B191936
	v_mul_f32_e32 v141, v54, v141                              // 0000000073A4: 0B1B1B36
	v_mul_f32_e32 v142, v54, v142                              // 0000000073A8: 0B1D1D36
	v_mul_f32_e32 v143, v54, v143                              // 0000000073AC: 0B1F1F36
	buffer_load_dwordx4 a[48:51], v31, s[16:19], 0 offen       // 0000000073B0: E05C1000 8084301F
	v_mul_f32_dpp v128, v248, v128 quad_perm:[0,0,0,0] row_mask:0xf bank_mask:0xf// 0000000073B8: 0B0100FA FF0000F8
	v_mul_f32_dpp v129, v248, v129 quad_perm:[1,1,1,1] row_mask:0xf bank_mask:0xf// 0000000073C0: 0B0302FA FF0055F8
	v_mul_f32_dpp v130, v248, v130 quad_perm:[2,2,2,2] row_mask:0xf bank_mask:0xf// 0000000073C8: 0B0504FA FF00AAF8
	v_mul_f32_dpp v131, v248, v131 quad_perm:[3,3,3,3] row_mask:0xf bank_mask:0xf// 0000000073D0: 0B0706FA FF00FFF8
	v_mul_f32_dpp v132, v249, v132 quad_perm:[0,0,0,0] row_mask:0xf bank_mask:0xf// 0000000073D8: 0B0908FA FF0000F9
	v_mul_f32_dpp v133, v249, v133 quad_perm:[1,1,1,1] row_mask:0xf bank_mask:0xf// 0000000073E0: 0B0B0AFA FF0055F9
	v_mul_f32_dpp v134, v249, v134 quad_perm:[2,2,2,2] row_mask:0xf bank_mask:0xf// 0000000073E8: 0B0D0CFA FF00AAF9
	v_mul_f32_dpp v135, v249, v135 quad_perm:[3,3,3,3] row_mask:0xf bank_mask:0xf// 0000000073F0: 0B0F0EFA FF00FFF9
	v_mul_f32_dpp v136, v250, v136 quad_perm:[0,0,0,0] row_mask:0xf bank_mask:0xf// 0000000073F8: 0B1110FA FF0000FA
	v_mul_f32_dpp v137, v250, v137 quad_perm:[1,1,1,1] row_mask:0xf bank_mask:0xf// 000000007400: 0B1312FA FF0055FA
	v_mul_f32_dpp v138, v250, v138 quad_perm:[2,2,2,2] row_mask:0xf bank_mask:0xf// 000000007408: 0B1514FA FF00AAFA
	v_mul_f32_dpp v139, v250, v139 quad_perm:[3,3,3,3] row_mask:0xf bank_mask:0xf// 000000007410: 0B1716FA FF00FFFA
	v_mul_f32_dpp v140, v251, v140 quad_perm:[0,0,0,0] row_mask:0xf bank_mask:0xf// 000000007418: 0B1918FA FF0000FB
	v_mul_f32_dpp v141, v251, v141 quad_perm:[1,1,1,1] row_mask:0xf bank_mask:0xf// 000000007420: 0B1B1AFA FF0055FB
	v_mul_f32_dpp v142, v251, v142 quad_perm:[2,2,2,2] row_mask:0xf bank_mask:0xf// 000000007428: 0B1D1CFA FF00AAFB
	v_mul_f32_dpp v143, v251, v143 quad_perm:[3,3,3,3] row_mask:0xf bank_mask:0xf// 000000007430: 0B1F1EFA FF00FFFB
	buffer_load_dwordx4 a[52:55], v31, s[16:19], 0 offen offset:1024// 000000007438: E05C1400 8084341F
	v_mov_b32_e32 v62, v128                                    // 000000007440: 7E7C0380
	v_max3_f32 v62, v128, v129, v62                            // 000000007444: D1D3003E 04FB0380
	v_max3_f32 v62, v130, v131, v62                            // 00000000744C: D1D3003E 04FB0782
	v_max3_f32 v62, v132, v133, v62                            // 000000007454: D1D3003E 04FB0B84
	v_max3_f32 v62, v134, v135, v62                            // 00000000745C: D1D3003E 04FB0F86
	v_max3_f32 v62, v136, v137, v62                            // 000000007464: D1D3003E 04FB1388
	v_max3_f32 v62, v138, v139, v62                            // 00000000746C: D1D3003E 04FB178A
	v_max3_f32 v62, v140, v141, v62                            // 000000007474: D1D3003E 04FB1B8C
	v_max3_f32 v62, v142, v143, v62                            // 00000000747C: D1D3003E 04FB1F8E
	ds_write_b32 v11, v62 offset:16896                         // 000000007484: D81A4200 00003E0B
	buffer_load_dwordx4 a[56:59], v32, s[16:19], 0 offen       // 00000000748C: E05C1000 80843820
	v_mul_u32_u24_dpp v41, v20, v68 row_newbcast:1 row_mask:0xf bank_mask:0xf// 000000007494: 105288FA FF015114
	v_mul_u32_u24_dpp v42, v20, v68 row_newbcast:5 row_mask:0xf bank_mask:0xf// 00000000749C: 105488FA FF015514
	v_mul_u32_u24_dpp v43, v20, v68 row_newbcast:9 row_mask:0xf bank_mask:0xf// 0000000074A4: 105688FA FF015914
	v_mul_u32_u24_dpp v44, v20, v68 row_newbcast:13 row_mask:0xf bank_mask:0xf// 0000000074AC: 105888FA FF015D14
	v_add_u32_e32 v37, v41, v7                                 // 0000000074B4: 684A0F29
	v_add_u32_e32 v38, v42, v7                                 // 0000000074B8: 684C0F2A
	v_add_u32_e32 v39, v43, v7                                 // 0000000074BC: 684E0F2B
	v_add_u32_e32 v40, v44, v7                                 // 0000000074C0: 68500F2C
	v_mul_f32_e32 v224, v63, v224                              // 0000000074C4: 0BC1C13F
	v_mul_f32_e32 v225, v63, v225                              // 0000000074C8: 0BC3C33F
	v_mul_f32_e32 v226, v63, v226                              // 0000000074CC: 0BC5C53F
	v_mul_f32_e32 v227, v63, v227                              // 0000000074D0: 0BC7C73F
	v_mul_f32_e32 v228, v63, v228                              // 0000000074D4: 0BC9C93F
	v_mul_f32_e32 v229, v63, v229                              // 0000000074D8: 0BCBCB3F
	v_mul_f32_e32 v230, v63, v230                              // 0000000074DC: 0BCDCD3F
	v_mul_f32_e32 v231, v63, v231                              // 0000000074E0: 0BCFCF3F
	s_waitcnt lgkmcnt(0)                                       // 0000000074E4: BF8CC07F
	s_barrier                                                  // 0000000074E8: BF8A0000
	ds_read_b32 v80, v10 offset:16896                          // 0000000074EC: D86C4200 5000000A
	ds_read_b32 v81, v10 offset:16960                          // 0000000074F4: D86C4240 5100000A
	ds_read_b32 v82, v10 offset:17024                          // 0000000074FC: D86C4280 5200000A
	ds_read_b32 v83, v10 offset:17088                          // 000000007504: D86C42C0 5300000A
	ds_read_b32 v84, v10 offset:17152                          // 00000000750C: D86C4300 5400000A
	ds_read_b32 v85, v10 offset:17216                          // 000000007514: D86C4340 5500000A
	ds_read_b32 v86, v10 offset:17280                          // 00000000751C: D86C4380 5600000A
	ds_read_b32 v87, v10 offset:17344                          // 000000007524: D86C43C0 5700000A
	ds_read_b32 v88, v10 offset:17408                          // 00000000752C: D86C4400 5800000A
	ds_read_b32 v89, v10 offset:17472                          // 000000007534: D86C4440 5900000A
	ds_read_b32 v90, v10 offset:17536                          // 00000000753C: D86C4480 5A00000A
	ds_read_b32 v91, v10 offset:17600                          // 000000007544: D86C44C0 5B00000A
	ds_read_b32 v92, v10 offset:17664                          // 00000000754C: D86C4500 5C00000A
	ds_read_b32 v93, v10 offset:17728                          // 000000007554: D86C4540 5D00000A
	ds_read_b32 v94, v10 offset:17792                          // 00000000755C: D86C4580 5E00000A
	ds_read_b32 v95, v10 offset:17856                          // 000000007564: D86C45C0 5F00000A
	buffer_load_dwordx4 a[60:63], v32, s[16:19], 0 offen offset:1024// 00000000756C: E05C1400 80843C20
	v_mul_f32_e32 v192, v58, v192                              // 000000007574: 0B81813A
	v_mul_f32_e32 v193, v58, v193                              // 000000007578: 0B83833A
	v_mul_f32_e32 v194, v58, v194                              // 00000000757C: 0B85853A
	v_mul_f32_e32 v195, v58, v195                              // 000000007580: 0B87873A
	v_mul_f32_e32 v196, v58, v196                              // 000000007584: 0B89893A
	v_mul_f32_e32 v197, v58, v197                              // 000000007588: 0B8B8B3A
	v_mul_f32_e32 v198, v58, v198                              // 00000000758C: 0B8D8D3A
	v_mul_f32_e32 v199, v58, v199                              // 000000007590: 0B8F8F3A
	s_waitcnt lgkmcnt(0)                                       // 000000007594: BF8CC07F
	v_max3_f32 v62, v80, v81, v62                              // 000000007598: D1D3003E 04FAA350
	v_max3_f32 v62, v82, v83, v62                              // 0000000075A0: D1D3003E 04FAA752
	v_max3_f32 v62, v84, v85, v62                              // 0000000075A8: D1D3003E 04FAAB54
	v_max3_f32 v62, v86, v87, v62                              // 0000000075B0: D1D3003E 04FAAF56
	v_max3_f32 v62, v88, v89, v62                              // 0000000075B8: D1D3003E 04FAB358
	v_max3_f32 v62, v90, v91, v62                              // 0000000075C0: D1D3003E 04FAB75A
	v_max3_f32 v62, v92, v93, v62                              // 0000000075C8: D1D3003E 04FABB5C
	v_max3_f32 v62, v94, v95, v62                              // 0000000075D0: D1D3003E 04FABF5E
	buffer_load_dwordx4 a[96:99], v37, s[20:23], 0 offen       // 0000000075D8: E05C1000 80856025
	v_mov_b32_e32 v41, 0xff800000                              // 0000000075E0: 7E5202FF FF800000
	v_cmp_eq_u32_e64 s[40:41], v41, v14                        // 0000000075E8: D0CA0028 00021D29
	s_nop 1                                                    // 0000000075F0: BF800001
	v_max_f32_e32 v18, v62, v14                                // 0000000075F4: 16241D3E
	v_mul_f32_e32 v67, s64, v18                                // 0000000075F8: 0A862440
	v_fma_f32 v128, v128, s64, -v67                            // 0000000075FC: D1CB0080 850C8180
	v_fma_f32 v129, v129, s64, -v67                            // 000000007604: D1CB0081 850C8181
	v_fma_f32 v130, v130, s64, -v67                            // 00000000760C: D1CB0082 850C8182
	v_fma_f32 v131, v131, s64, -v67                            // 000000007614: D1CB0083 850C8183
	v_fma_f32 v132, v132, s64, -v67                            // 00000000761C: D1CB0084 850C8184
	v_fma_f32 v133, v133, s64, -v67                            // 000000007624: D1CB0085 850C8185
	v_fma_f32 v134, v134, s64, -v67                            // 00000000762C: D1CB0086 850C8186
	v_fma_f32 v135, v135, s64, -v67                            // 000000007634: D1CB0087 850C8187
	v_fma_f32 v136, v136, s64, -v67                            // 00000000763C: D1CB0088 850C8188
	v_fma_f32 v137, v137, s64, -v67                            // 000000007644: D1CB0089 850C8189
	v_fma_f32 v138, v138, s64, -v67                            // 00000000764C: D1CB008A 850C818A
	v_fma_f32 v139, v139, s64, -v67                            // 000000007654: D1CB008B 850C818B
	v_fma_f32 v140, v140, s64, -v67                            // 00000000765C: D1CB008C 850C818C
	v_fma_f32 v141, v141, s64, -v67                            // 000000007664: D1CB008D 850C818D
	v_fma_f32 v142, v142, s64, -v67                            // 00000000766C: D1CB008E 850C818E
	v_fma_f32 v143, v143, s64, -v67                            // 000000007674: D1CB008F 850C818F
	buffer_load_dwordx4 a[100:103], v38, s[20:23], 0 offen     // 00000000767C: E05C1000 80856426
	v_exp_f32_e32 v128, v128                                   // 000000007684: 7F004180
	v_exp_f32_e32 v129, v129                                   // 000000007688: 7F024181
	v_exp_f32_e32 v130, v130                                   // 00000000768C: 7F044182
	v_exp_f32_e32 v131, v131                                   // 000000007690: 7F064183
	v_exp_f32_e32 v132, v132                                   // 000000007694: 7F084184
	v_exp_f32_e32 v133, v133                                   // 000000007698: 7F0A4185
	v_exp_f32_e32 v134, v134                                   // 00000000769C: 7F0C4186
	v_exp_f32_e32 v135, v135                                   // 0000000076A0: 7F0E4187
	v_exp_f32_e32 v136, v136                                   // 0000000076A4: 7F104188
	v_exp_f32_e32 v137, v137                                   // 0000000076A8: 7F124189
	v_exp_f32_e32 v138, v138                                   // 0000000076AC: 7F14418A
	v_exp_f32_e32 v139, v139                                   // 0000000076B0: 7F16418B
	v_exp_f32_e32 v140, v140                                   // 0000000076B4: 7F18418C
	v_exp_f32_e32 v141, v141                                   // 0000000076B8: 7F1A418D
	v_exp_f32_e32 v142, v142                                   // 0000000076BC: 7F1C418E
	v_exp_f32_e32 v143, v143                                   // 0000000076C0: 7F1E418F
	buffer_load_dwordx4 a[104:107], v39, s[20:23], 0 offen     // 0000000076C4: E05C1000 80856827
	v_mul_f32_dpp v240, v252, v128 quad_perm:[0,0,0,0] row_mask:0xf bank_mask:0xf// 0000000076CC: 0BE100FA FF0000FC
	v_mul_f32_dpp v241, v252, v129 quad_perm:[1,1,1,1] row_mask:0xf bank_mask:0xf// 0000000076D4: 0BE302FA FF0055FC
	v_mul_f32_dpp v242, v252, v130 quad_perm:[2,2,2,2] row_mask:0xf bank_mask:0xf// 0000000076DC: 0BE504FA FF00AAFC
	v_mul_f32_dpp v243, v252, v131 quad_perm:[3,3,3,3] row_mask:0xf bank_mask:0xf// 0000000076E4: 0BE706FA FF00FFFC
	v_mul_f32_dpp v244, v253, v132 quad_perm:[0,0,0,0] row_mask:0xf bank_mask:0xf// 0000000076EC: 0BE908FA FF0000FD
	v_mul_f32_dpp v245, v253, v133 quad_perm:[1,1,1,1] row_mask:0xf bank_mask:0xf// 0000000076F4: 0BEB0AFA FF0055FD
	v_mul_f32_dpp v246, v253, v134 quad_perm:[2,2,2,2] row_mask:0xf bank_mask:0xf// 0000000076FC: 0BED0CFA FF00AAFD
	v_mul_f32_dpp v247, v253, v135 quad_perm:[3,3,3,3] row_mask:0xf bank_mask:0xf// 000000007704: 0BEF0EFA FF00FFFD
	v_mul_f32_dpp v248, v254, v136 quad_perm:[0,0,0,0] row_mask:0xf bank_mask:0xf// 00000000770C: 0BF110FA FF0000FE
	v_mul_f32_dpp v249, v254, v137 quad_perm:[1,1,1,1] row_mask:0xf bank_mask:0xf// 000000007714: 0BF312FA FF0055FE
	v_mul_f32_dpp v250, v254, v138 quad_perm:[2,2,2,2] row_mask:0xf bank_mask:0xf// 00000000771C: 0BF514FA FF00AAFE
	v_mul_f32_dpp v251, v254, v139 quad_perm:[3,3,3,3] row_mask:0xf bank_mask:0xf// 000000007724: 0BF716FA FF00FFFE
	v_mul_f32_dpp v252, v255, v140 quad_perm:[0,0,0,0] row_mask:0xf bank_mask:0xf// 00000000772C: 0BF918FA FF0000FF
	v_mul_f32_dpp v253, v255, v141 quad_perm:[1,1,1,1] row_mask:0xf bank_mask:0xf// 000000007734: 0BFB1AFA FF0055FF
	v_mul_f32_dpp v254, v255, v142 quad_perm:[2,2,2,2] row_mask:0xf bank_mask:0xf// 00000000773C: 0BFD1CFA FF00AAFF
	v_mul_f32_dpp v255, v255, v143 quad_perm:[3,3,3,3] row_mask:0xf bank_mask:0xf// 000000007744: 0BFF1EFA FF00FFFF
	v_mov_b32_e32 v62, 0x358637bd                              // 00000000774C: 7E7C02FF 358637BD
	v_max3_f32 v62, |v240|, |v241|, v62                        // 000000007754: D1D3033E 04FBE3F0
	v_max3_f32 v62, |v242|, |v243|, v62                        // 00000000775C: D1D3033E 04FBE7F2
	v_max3_f32 v62, |v244|, |v245|, v62                        // 000000007764: D1D3033E 04FBEBF4
	v_max3_f32 v62, |v246|, |v247|, v62                        // 00000000776C: D1D3033E 04FBEFF6
	v_max3_f32 v62, |v248|, |v249|, v62                        // 000000007774: D1D3033E 04FBF3F8
	v_max3_f32 v62, |v250|, |v251|, v62                        // 00000000777C: D1D3033E 04FBF7FA
	v_max3_f32 v62, |v252|, |v253|, v62                        // 000000007784: D1D3033E 04FBFBFC
	v_max3_f32 v62, |v254|, |v255|, v62                        // 00000000778C: D1D3033E 04FBFFFE
	buffer_load_dwordx4 a[108:111], v40, s[20:23], 0 offen     // 000000007794: E05C1000 80856C28
	ds_write_b32 v11, v62 offset:20992                         // 00000000779C: D81A5200 00003E0B
	v_sub_f32_e32 v63, v14, v18                                // 0000000077A4: 047E250E
	v_cndmask_b32_e64 v63, v63, 0, s[40:41]                    // 0000000077A8: D100003F 00A1013F
	v_mov_b32_e32 v14, v18                                     // 0000000077B0: 7E1C0312
	v_mul_f32_e32 v63, s64, v63                                // 0000000077B4: 0A7E7E40
	v_exp_f32_e32 v63, v63                                     // 0000000077B8: 7E7E413F
	s_waitcnt lgkmcnt(0)                                       // 0000000077BC: BF8CC07F
	s_barrier                                                  // 0000000077C0: BF8A0000
	ds_read_b32 v80, v10 offset:20992                          // 0000000077C4: D86C5200 5000000A
	ds_read_b32 v81, v10 offset:21056                          // 0000000077CC: D86C5240 5100000A
	ds_read_b32 v82, v10 offset:21120                          // 0000000077D4: D86C5280 5200000A
	ds_read_b32 v83, v10 offset:21184                          // 0000000077DC: D86C52C0 5300000A
	ds_read_b32 v84, v10 offset:21248                          // 0000000077E4: D86C5300 5400000A
	ds_read_b32 v85, v10 offset:21312                          // 0000000077EC: D86C5340 5500000A
	ds_read_b32 v86, v10 offset:21376                          // 0000000077F4: D86C5380 5600000A
	ds_read_b32 v87, v10 offset:21440                          // 0000000077FC: D86C53C0 5700000A
	ds_read_b32 v88, v10 offset:21504                          // 000000007804: D86C5400 5800000A
	ds_read_b32 v89, v10 offset:21568                          // 00000000780C: D86C5440 5900000A
	ds_read_b32 v90, v10 offset:21632                          // 000000007814: D86C5480 5A00000A
	ds_read_b32 v91, v10 offset:21696                          // 00000000781C: D86C54C0 5B00000A
	ds_read_b32 v92, v10 offset:21760                          // 000000007824: D86C5500 5C00000A
	ds_read_b32 v93, v10 offset:21824                          // 00000000782C: D86C5540 5D00000A
	ds_read_b32 v94, v10 offset:21888                          // 000000007834: D86C5580 5E00000A
	ds_read_b32 v95, v10 offset:21952                          // 00000000783C: D86C55C0 5F00000A
	v_mul_f32_e32 v47, v63, v47                                // 000000007844: 0A5E5F3F
	v_mov_b32_e32 v18, v128                                    // 000000007848: 7E240380
	v_add_f32_e32 v18, v129, v18                               // 00000000784C: 02242581
	v_add_f32_e32 v18, v130, v18                               // 000000007850: 02242582
	v_add_f32_e32 v18, v131, v18                               // 000000007854: 02242583
	;; [unrolled: 1-line block ×3, first 2 shown]
	v_add_f32_e32 v18, v133, v18                               // 00000000785C: 02242585
	v_add_f32_e32 v18, v134, v18                               // 000000007860: 02242586
	v_add_f32_e32 v18, v135, v18                               // 000000007864: 02242587
	;; [unrolled: 1-line block ×3, first 2 shown]
	v_add_f32_e32 v18, v137, v18                               // 00000000786C: 02242589
	v_add_f32_e32 v18, v138, v18                               // 000000007870: 0224258A
	v_add_f32_e32 v18, v139, v18                               // 000000007874: 0224258B
	v_add_f32_e32 v18, v140, v18                               // 000000007878: 0224258C
	v_add_f32_e32 v18, v141, v18                               // 00000000787C: 0224258D
	v_add_f32_e32 v18, v142, v18                               // 000000007880: 0224258E
	v_add_f32_e32 v18, v143, v18                               // 000000007884: 0224258F
	v_add_f32_e32 v47, v18, v47                                // 000000007888: 025E5F12
	s_waitcnt lgkmcnt(0)                                       // 00000000788C: BF8CC07F
	v_max3_f32 v62, |v80|, |v81|, v62                          // 000000007890: D1D3033E 04FAA350
	v_max3_f32 v62, |v82|, |v83|, v62                          // 000000007898: D1D3033E 04FAA752
	v_max3_f32 v62, |v84|, |v85|, v62                          // 0000000078A0: D1D3033E 04FAAB54
	v_max3_f32 v62, |v86|, |v87|, v62                          // 0000000078A8: D1D3033E 04FAAF56
	v_max3_f32 v62, |v88|, |v89|, v62                          // 0000000078B0: D1D3033E 04FAB358
	v_max3_f32 v62, |v90|, |v91|, v62                          // 0000000078B8: D1D3033E 04FAB75A
	v_max3_f32 v62, |v92|, |v93|, v62                          // 0000000078C0: D1D3033E 04FABB5C
	v_max3_f32 v62, |v94|, |v95|, v62                          // 0000000078C8: D1D3033E 04FABF5E
	s_nop 2                                                    // 0000000078D0: BF800002
	v_rcp_f32_e32 v62, v62                                     // 0000000078D4: 7E7C453E
	s_nop 1                                                    // 0000000078D8: BF800001
	v_mul_f32_e32 v62, 0x43700000, v62                         // 0000000078DC: 0A7C7CFF 43700000
	v_mul_f32_e32 v128, v62, v240                              // 0000000078E4: 0B01E13E
	v_mul_f32_e32 v129, v62, v241                              // 0000000078E8: 0B03E33E
	v_mul_f32_e32 v130, v62, v242                              // 0000000078EC: 0B05E53E
	v_mul_f32_e32 v131, v62, v243                              // 0000000078F0: 0B07E73E
	v_mul_f32_e32 v132, v62, v244                              // 0000000078F4: 0B09E93E
	v_mul_f32_e32 v133, v62, v245                              // 0000000078F8: 0B0BEB3E
	v_mul_f32_e32 v134, v62, v246                              // 0000000078FC: 0B0DED3E
	v_mul_f32_e32 v135, v62, v247                              // 000000007900: 0B0FEF3E
	v_mul_f32_e32 v136, v62, v248                              // 000000007904: 0B11F13E
	v_mul_f32_e32 v137, v62, v249                              // 000000007908: 0B13F33E
	v_mul_f32_e32 v138, v62, v250                              // 00000000790C: 0B15F53E
	v_mul_f32_e32 v139, v62, v251                              // 000000007910: 0B17F73E
	v_mul_f32_e32 v140, v62, v252                              // 000000007914: 0B19F93E
	v_mul_f32_e32 v141, v62, v253                              // 000000007918: 0B1BFB3E
	v_mul_f32_e32 v142, v62, v254                              // 00000000791C: 0B1DFD3E
	v_mul_f32_e32 v143, v62, v255                              // 000000007920: 0B1FFF3E
	v_cvt_pk_fp8_f32 v128, v128, v129                          // 000000007924: D2A20080 00030380
	v_cvt_pk_fp8_f32 v128, v130, v131 op_sel:[0,0,1]           // 00000000792C: D2A24080 00030782
	v_cvt_pk_fp8_f32 v129, v132, v133                          // 000000007934: D2A20081 00030B84
	v_cvt_pk_fp8_f32 v129, v134, v135 op_sel:[0,0,1]           // 00000000793C: D2A24081 00030F86
	v_cvt_pk_fp8_f32 v130, v136, v137                          // 000000007944: D2A20082 00031388
	v_cvt_pk_fp8_f32 v130, v138, v139 op_sel:[0,0,1]           // 00000000794C: D2A24082 0003178A
	v_cvt_pk_fp8_f32 v131, v140, v141                          // 000000007954: D2A20083 00031B8C
	v_cvt_pk_fp8_f32 v131, v142, v143 op_sel:[0,0,1]           // 00000000795C: D2A24083 00031F8E
	ds_write_b32 v13, v128 offset:25088                        // 000000007964: D81A6200 0000800D
	ds_write_b32 v13, v129 offset:26112                        // 00000000796C: D81A6600 0000810D
	ds_write_b32 v13, v130 offset:27136                        // 000000007974: D81A6A00 0000820D
	ds_write_b32 v13, v131 offset:28160                        // 00000000797C: D81A6E00 0000830D
	v_add_f32_e32 v224, v224, v192                             // 000000007984: 03C181E0
	v_add_f32_e32 v225, v225, v193                             // 000000007988: 03C383E1
	v_add_f32_e32 v226, v226, v194                             // 00000000798C: 03C585E2
	v_add_f32_e32 v227, v227, v195                             // 000000007990: 03C787E3
	v_add_f32_e32 v228, v228, v196                             // 000000007994: 03C989E4
	v_add_f32_e32 v229, v229, v197                             // 000000007998: 03CB8BE5
	v_add_f32_e32 v230, v230, v198                             // 00000000799C: 03CD8DE6
	v_add_f32_e32 v231, v231, v199                             // 0000000079A0: 03CF8FE7
	v_rcp_f32_e32 v58, v62                                     // 0000000079A4: 7E74453E
	s_waitcnt lgkmcnt(0)                                       // 0000000079A8: BF8CC07F
	s_barrier                                                  // 0000000079AC: BF8A0000
	ds_read_b64 v[128:129], v12 offset:25088                   // 0000000079B0: D8EC6200 8000000C
	ds_read_b64 v[130:131], v12 offset:25216                   // 0000000079B8: D8EC6280 8200000C
	ds_read_b64 v[132:133], v12 offset:26112                   // 0000000079C0: D8EC6600 8400000C
	ds_read_b64 v[134:135], v12 offset:26240                   // 0000000079C8: D8EC6680 8600000C
	ds_read_b64 v[136:137], v12 offset:27136                   // 0000000079D0: D8EC6A00 8800000C
	ds_read_b64 v[138:139], v12 offset:27264                   // 0000000079D8: D8EC6A80 8A00000C
	ds_read_b64 v[140:141], v12 offset:28160                   // 0000000079E0: D8EC6E00 8C00000C
	ds_read_b64 v[142:143], v12 offset:28288                   // 0000000079E8: D8EC6E80 8E00000C
	s_waitcnt vmcnt(15)                                        // 0000000079F0: BF8C0F7F
	s_waitcnt lgkmcnt(7)                                       // 0000000079F4: BF8CC77F
	v_mfma_f32_16x16x32_fp8_fp8 v[192:195], a[64:65], v[128:129], 0// 0000000079F8: D3F300C0 0A030140
	buffer_load_dwordx4 a[112:115], v37, s[20:23], 0 offen offset:1024// 000000007A00: E05C1400 80857025
	s_waitcnt lgkmcnt(6)                                       // 000000007A08: BF8CC67F
	v_mfma_f32_16x16x32_fp8_fp8 v[192:195], a[66:67], v[130:131], v[192:195]// 000000007A0C: D3F300C0 0F030542
	s_waitcnt lgkmcnt(5)                                       // 000000007A14: BF8CC57F
	v_mfma_f32_16x16x32_fp8_fp8 v[192:195], a[68:69], v[132:133], v[192:195]// 000000007A18: D3F300C0 0F030944
	s_waitcnt lgkmcnt(4)                                       // 000000007A20: BF8CC47F
	v_mfma_f32_16x16x32_fp8_fp8 v[192:195], a[70:71], v[134:135], v[192:195]// 000000007A24: D3F300C0 0F030D46
	s_waitcnt lgkmcnt(3)                                       // 000000007A2C: BF8CC37F
	v_mfma_f32_16x16x32_fp8_fp8 v[192:195], a[72:73], v[136:137], v[192:195]// 000000007A30: D3F300C0 0F031148
	buffer_load_dwordx4 a[116:119], v38, s[20:23], 0 offen offset:1024// 000000007A38: E05C1400 80857426
	s_waitcnt lgkmcnt(2)                                       // 000000007A40: BF8CC27F
	v_mfma_f32_16x16x32_fp8_fp8 v[192:195], a[74:75], v[138:139], v[192:195]// 000000007A44: D3F300C0 0F03154A
	s_waitcnt lgkmcnt(1)                                       // 000000007A4C: BF8CC17F
	v_mfma_f32_16x16x32_fp8_fp8 v[192:195], a[76:77], v[140:141], v[192:195]// 000000007A50: D3F300C0 0F03194C
	s_waitcnt lgkmcnt(0)                                       // 000000007A58: BF8CC07F
	v_mfma_f32_16x16x32_fp8_fp8 v[192:195], a[78:79], v[142:143], v[192:195]// 000000007A5C: D3F300C0 0F031D4E
	v_mfma_f32_16x16x32_fp8_fp8 v[196:199], a[80:81], v[128:129], 0// 000000007A64: D3F300C4 0A030150
	buffer_load_dwordx4 a[120:123], v39, s[20:23], 0 offen offset:1024// 000000007A6C: E05C1400 80857827
	v_mfma_f32_16x16x32_fp8_fp8 v[196:199], a[82:83], v[130:131], v[196:199]// 000000007A74: D3F300C4 0F130552
	v_mfma_f32_16x16x32_fp8_fp8 v[196:199], a[84:85], v[132:133], v[196:199]// 000000007A7C: D3F300C4 0F130954
	v_mfma_f32_16x16x32_fp8_fp8 v[196:199], a[86:87], v[134:135], v[196:199]// 000000007A84: D3F300C4 0F130D56
	v_mfma_f32_16x16x32_fp8_fp8 v[196:199], a[88:89], v[136:137], v[196:199]// 000000007A8C: D3F300C4 0F131158
	buffer_load_dwordx4 a[124:127], v40, s[20:23], 0 offen offset:1024// 000000007A94: E05C1400 80857C28
	v_mfma_f32_16x16x32_fp8_fp8 v[196:199], a[90:91], v[138:139], v[196:199]// 000000007A9C: D3F300C4 0F13155A
	v_mfma_f32_16x16x32_fp8_fp8 v[196:199], a[92:93], v[140:141], v[196:199]// 000000007AA4: D3F300C4 0F13195C
	s_lshr_b32 s57, s70, 4                                     // 000000007AAC: 8F398446
	s_add_u32 s57, 48, s57                                     // 000000007AB0: 803939B0
	v_mfma_f32_16x16x32_fp8_fp8 v[196:199], a[94:95], v[142:143], v[196:199]// 000000007AB4: D3F300C4 0F131D5E
	s_cmp_ge_u32 s57, s73                                      // 000000007ABC: BF094939
	s_cselect_b32 s56, 0, s56                                  // 000000007AC0: 85383880
	v_add_u32_e32 v1, s56, v1                                  // 000000007AC4: 68020238
	s_addk_i32 s70, 0x100                                      // 000000007AC8: B7460100
	s_cmp_lt_i32 s70, s71                                      // 000000007ACC: BF044746
	s_cbranch_scc0 label_13E4                                  // 000000007AD0: BF84FDAF
	s_waitcnt vmcnt(8) lgkmcnt(0)                              // 000000007AD4: BF8C0078
	v_mul_u32_u24_dpp v41, v19, v68 row_newbcast:0 row_mask:0xf bank_mask:0xf// 000000007AD8: 105288FA FF015013
	v_mul_u32_u24_dpp v42, v19, v68 row_newbcast:4 row_mask:0xf bank_mask:0xf// 000000007AE0: 105488FA FF015413
	v_mul_u32_u24_dpp v43, v19, v68 row_newbcast:8 row_mask:0xf bank_mask:0xf// 000000007AE8: 105688FA FF015813
	v_mul_u32_u24_dpp v44, v19, v68 row_newbcast:12 row_mask:0xf bank_mask:0xf// 000000007AF0: 105888FA FF015C13
	v_add_u32_e32 v25, v41, v6                                 // 000000007AF8: 68320D29
	v_add_u32_e32 v26, v42, v6                                 // 000000007AFC: 68340D2A
	v_add_u32_e32 v27, v43, v6                                 // 000000007B00: 68360D2B
	v_add_u32_e32 v28, v44, v6                                 // 000000007B04: 68380D2C
	v_mul_u32_u24_dpp v41, v19, v78 quad_perm:[0,0,0,0] row_mask:0xf bank_mask:0xf// 000000007B08: 10529CFA FF000013
	v_add_u32_e32 v2, v41, v74                                 // 000000007B10: 68049529
	v_mul_u32_u24_dpp v41, v19, v78 quad_perm:[0,0,0,0] row_mask:0xf bank_mask:0xf// 000000007B14: 10529CFA FF000013
	v_add_u32_e32 v70, v41, v75                                // 000000007B1C: 688C9729
	v_mfma_f32_16x16x32_fp8_fp8 v[128:131], a[32:33], v[96:97], 0// 000000007B20: D3F30080 0A02C120
	buffer_load_dwordx4 a[0:3], v25, s[16:19], 0 offen         // 000000007B28: E05C1000 80840019
	v_mfma_f32_16x16x32_fp8_fp8 v[128:131], a[34:35], v[98:99], v[128:131]// 000000007B30: D3F30080 0E02C522
	v_mfma_f32_16x16x32_fp8_fp8 v[128:131], a[36:37], v[100:101], v[128:131]// 000000007B38: D3F30080 0E02C924
	buffer_load_dword v20, v1, s[24:27], 0 offen               // 000000007B40: E0501000 80061401
	v_mfma_f32_16x16x32_fp8_fp8 v[128:131], a[38:39], v[102:103], v[128:131]// 000000007B48: D3F30080 0E02CD26
	v_mfma_f32_16x16x32_fp8_fp8 v[132:135], a[40:41], v[96:97], 0// 000000007B50: D3F30084 0A02C128
	buffer_load_dwordx4 a[4:7], v25, s[16:19], 0 offen offset:1024// 000000007B58: E05C1400 80840419
	v_mfma_f32_16x16x32_fp8_fp8 v[132:135], a[42:43], v[98:99], v[132:135]// 000000007B60: D3F30084 0E12C52A
	v_mfma_f32_16x16x32_fp8_fp8 v[132:135], a[44:45], v[100:101], v[132:135]// 000000007B68: D3F30084 0E12C92C
	v_mfma_f32_16x16x32_fp8_fp8 v[132:135], a[46:47], v[102:103], v[132:135]// 000000007B70: D3F30084 0E12CD2E
	v_mfma_f32_16x16x32_fp8_fp8 v[136:139], a[48:49], v[96:97], 0// 000000007B78: D3F30088 0A02C130
	buffer_load_dwordx4 a[8:11], v26, s[16:19], 0 offen        // 000000007B80: E05C1000 8084081A
	v_mfma_f32_16x16x32_fp8_fp8 v[136:139], a[50:51], v[98:99], v[136:139]// 000000007B88: D3F30088 0E22C532
	v_mfma_f32_16x16x32_fp8_fp8 v[136:139], a[52:53], v[100:101], v[136:139]// 000000007B90: D3F30088 0E22C934
	v_mfma_f32_16x16x32_fp8_fp8 v[136:139], a[54:55], v[102:103], v[136:139]// 000000007B98: D3F30088 0E22CD36
	v_mfma_f32_16x16x32_fp8_fp8 v[140:143], a[56:57], v[96:97], 0// 000000007BA0: D3F3008C 0A02C138
	buffer_load_dwordx4 a[12:15], v26, s[16:19], 0 offen offset:1024// 000000007BA8: E05C1400 80840C1A
	v_mfma_f32_16x16x32_fp8_fp8 v[140:143], a[58:59], v[98:99], v[140:143]// 000000007BB0: D3F3008C 0E32C53A
	v_mfma_f32_16x16x32_fp8_fp8 v[140:143], a[60:61], v[100:101], v[140:143]// 000000007BB8: D3F3008C 0E32C93C
	v_mfma_f32_16x16x32_fp8_fp8 v[140:143], a[62:63], v[102:103], v[140:143]// 000000007BC0: D3F3008C 0E32CD3E
	buffer_load_dword v52, v2, s[32:35], 0 offen               // 000000007BC8: E0501000 80083402
	v_mov_b32_dpp v41, v53 row_shr:4 row_mask:0xf bank_mask:0xf// 000000007BD0: 7E5202FA FF011435
	v_mov_b32_dpp v42, v53 row_shl:4 row_mask:0xf bank_mask:0xf// 000000007BD8: 7E5402FA FF010435
	v_cndmask_b32_e64 v248, v53, v41, s[44:45]                 // 000000007BE0: D10000F8 00B25335
	v_cndmask_b32_e64 v249, v42, v53, s[44:45]                 // 000000007BE8: D10000F9 00B26B2A
	v_mov_b32_dpp v41, v248 row_shr:8 row_mask:0xf bank_mask:0xf// 000000007BF0: 7E5202FA FF0118F8
	v_mov_b32_dpp v42, v248 row_shl:8 row_mask:0xf bank_mask:0xf// 000000007BF8: 7E5402FA FF0108F8
	v_mov_b32_dpp v43, v249 row_shr:8 row_mask:0xf bank_mask:0xf// 000000007C00: 7E5602FA FF0118F9
	v_mov_b32_dpp v44, v249 row_shl:8 row_mask:0xf bank_mask:0xf// 000000007C08: 7E5802FA FF0108F9
	v_mov_b32_e32 v45, v248                                    // 000000007C10: 7E5A03F8
	v_mov_b32_e32 v46, v249                                    // 000000007C14: 7E5C03F9
	v_cndmask_b32_e64 v248, v45, v41, s[42:43]                 // 000000007C18: D10000F8 00AA532D
	v_cndmask_b32_e64 v250, v45, v42, s[78:79]                 // 000000007C20: D10000FA 013A552D
	v_cndmask_b32_e64 v249, v46, v43, s[42:43]                 // 000000007C28: D10000F9 00AA572E
	v_cndmask_b32_e64 v251, v46, v44, s[78:79]                 // 000000007C30: D10000FB 013A592E
	v_mov_b32_dpp v41, v73 row_shr:4 row_mask:0xf bank_mask:0xf// 000000007C38: 7E5202FA FF011449
	v_mov_b32_dpp v42, v73 row_shl:4 row_mask:0xf bank_mask:0xf// 000000007C40: 7E5402FA FF010449
	v_cndmask_b32_e64 v252, v73, v41, s[44:45]                 // 000000007C48: D10000FC 00B25349
	v_cndmask_b32_e64 v253, v42, v73, s[44:45]                 // 000000007C50: D10000FD 00B2932A
	v_mov_b32_dpp v41, v252 row_shr:8 row_mask:0xf bank_mask:0xf// 000000007C58: 7E5202FA FF0118FC
	v_mov_b32_dpp v42, v252 row_shl:8 row_mask:0xf bank_mask:0xf// 000000007C60: 7E5402FA FF0108FC
	v_mov_b32_dpp v43, v253 row_shr:8 row_mask:0xf bank_mask:0xf// 000000007C68: 7E5602FA FF0118FD
	v_mov_b32_dpp v44, v253 row_shl:8 row_mask:0xf bank_mask:0xf// 000000007C70: 7E5802FA FF0108FD
	v_mov_b32_e32 v45, v252                                    // 000000007C78: 7E5A03FC
	v_mov_b32_e32 v46, v253                                    // 000000007C7C: 7E5C03FD
	v_cndmask_b32_e64 v252, v45, v41, s[42:43]                 // 000000007C80: D10000FC 00AA532D
	v_cndmask_b32_e64 v254, v45, v42, s[78:79]                 // 000000007C88: D10000FE 013A552D
	v_cndmask_b32_e64 v253, v46, v43, s[42:43]                 // 000000007C90: D10000FD 00AA572E
	v_cndmask_b32_e64 v255, v46, v44, s[78:79]                 // 000000007C98: D10000FF 013A592E
	buffer_load_dword v72, v70, s[36:39], 0 offen              // 000000007CA0: E0501000 80094846
	v_mul_f32_e32 v128, v54, v128                              // 000000007CA8: 0B010136
	v_mul_f32_e32 v129, v54, v129                              // 000000007CAC: 0B030336
	v_mul_f32_e32 v130, v54, v130                              // 000000007CB0: 0B050536
	v_mul_f32_e32 v131, v54, v131                              // 000000007CB4: 0B070736
	v_mul_f32_e32 v132, v54, v132                              // 000000007CB8: 0B090936
	v_mul_f32_e32 v133, v54, v133                              // 000000007CBC: 0B0B0B36
	v_mul_f32_e32 v134, v54, v134                              // 000000007CC0: 0B0D0D36
	v_mul_f32_e32 v135, v54, v135                              // 000000007CC4: 0B0F0F36
	v_mul_f32_e32 v136, v54, v136                              // 000000007CC8: 0B111136
	v_mul_f32_e32 v137, v54, v137                              // 000000007CCC: 0B131336
	v_mul_f32_e32 v138, v54, v138                              // 000000007CD0: 0B151536
	v_mul_f32_e32 v139, v54, v139                              // 000000007CD4: 0B171736
	v_mul_f32_e32 v140, v54, v140                              // 000000007CD8: 0B191936
	v_mul_f32_e32 v141, v54, v141                              // 000000007CDC: 0B1B1B36
	v_mul_f32_e32 v142, v54, v142                              // 000000007CE0: 0B1D1D36
	v_mul_f32_e32 v143, v54, v143                              // 000000007CE4: 0B1F1F36
	buffer_load_dwordx4 a[16:19], v27, s[16:19], 0 offen       // 000000007CE8: E05C1000 8084101B
	v_mul_f32_dpp v128, v248, v128 quad_perm:[0,0,0,0] row_mask:0xf bank_mask:0xf// 000000007CF0: 0B0100FA FF0000F8
	v_mul_f32_dpp v129, v248, v129 quad_perm:[1,1,1,1] row_mask:0xf bank_mask:0xf// 000000007CF8: 0B0302FA FF0055F8
	v_mul_f32_dpp v130, v248, v130 quad_perm:[2,2,2,2] row_mask:0xf bank_mask:0xf// 000000007D00: 0B0504FA FF00AAF8
	v_mul_f32_dpp v131, v248, v131 quad_perm:[3,3,3,3] row_mask:0xf bank_mask:0xf// 000000007D08: 0B0706FA FF00FFF8
	v_mul_f32_dpp v132, v249, v132 quad_perm:[0,0,0,0] row_mask:0xf bank_mask:0xf// 000000007D10: 0B0908FA FF0000F9
	v_mul_f32_dpp v133, v249, v133 quad_perm:[1,1,1,1] row_mask:0xf bank_mask:0xf// 000000007D18: 0B0B0AFA FF0055F9
	v_mul_f32_dpp v134, v249, v134 quad_perm:[2,2,2,2] row_mask:0xf bank_mask:0xf// 000000007D20: 0B0D0CFA FF00AAF9
	v_mul_f32_dpp v135, v249, v135 quad_perm:[3,3,3,3] row_mask:0xf bank_mask:0xf// 000000007D28: 0B0F0EFA FF00FFF9
	v_mul_f32_dpp v136, v250, v136 quad_perm:[0,0,0,0] row_mask:0xf bank_mask:0xf// 000000007D30: 0B1110FA FF0000FA
	v_mul_f32_dpp v137, v250, v137 quad_perm:[1,1,1,1] row_mask:0xf bank_mask:0xf// 000000007D38: 0B1312FA FF0055FA
	v_mul_f32_dpp v138, v250, v138 quad_perm:[2,2,2,2] row_mask:0xf bank_mask:0xf// 000000007D40: 0B1514FA FF00AAFA
	v_mul_f32_dpp v139, v250, v139 quad_perm:[3,3,3,3] row_mask:0xf bank_mask:0xf// 000000007D48: 0B1716FA FF00FFFA
	v_mul_f32_dpp v140, v251, v140 quad_perm:[0,0,0,0] row_mask:0xf bank_mask:0xf// 000000007D50: 0B1918FA FF0000FB
	v_mul_f32_dpp v141, v251, v141 quad_perm:[1,1,1,1] row_mask:0xf bank_mask:0xf// 000000007D58: 0B1B1AFA FF0055FB
	v_mul_f32_dpp v142, v251, v142 quad_perm:[2,2,2,2] row_mask:0xf bank_mask:0xf// 000000007D60: 0B1D1CFA FF00AAFB
	v_mul_f32_dpp v143, v251, v143 quad_perm:[3,3,3,3] row_mask:0xf bank_mask:0xf// 000000007D68: 0B1F1EFA FF00FFFB
	buffer_load_dwordx4 a[20:23], v27, s[16:19], 0 offen offset:1024// 000000007D70: E05C1400 8084141B
	v_mov_b32_e32 v62, v128                                    // 000000007D78: 7E7C0380
	v_max3_f32 v62, v128, v129, v62                            // 000000007D7C: D1D3003E 04FB0380
	v_max3_f32 v62, v130, v131, v62                            // 000000007D84: D1D3003E 04FB0782
	v_max3_f32 v62, v132, v133, v62                            // 000000007D8C: D1D3003E 04FB0B84
	v_max3_f32 v62, v134, v135, v62                            // 000000007D94: D1D3003E 04FB0F86
	v_max3_f32 v62, v136, v137, v62                            // 000000007D9C: D1D3003E 04FB1388
	v_max3_f32 v62, v138, v139, v62                            // 000000007DA4: D1D3003E 04FB178A
	v_max3_f32 v62, v140, v141, v62                            // 000000007DAC: D1D3003E 04FB1B8C
	v_max3_f32 v62, v142, v143, v62                            // 000000007DB4: D1D3003E 04FB1F8E
	ds_write_b32 v11, v62 offset:16896                         // 000000007DBC: D81A4200 00003E0B
	buffer_load_dwordx4 a[24:27], v28, s[16:19], 0 offen       // 000000007DC4: E05C1000 8084181C
	v_mul_u32_u24_dpp v41, v19, v68 row_newbcast:1 row_mask:0xf bank_mask:0xf// 000000007DCC: 105288FA FF015113
	v_mul_u32_u24_dpp v42, v19, v68 row_newbcast:5 row_mask:0xf bank_mask:0xf// 000000007DD4: 105488FA FF015513
	v_mul_u32_u24_dpp v43, v19, v68 row_newbcast:9 row_mask:0xf bank_mask:0xf// 000000007DDC: 105688FA FF015913
	v_mul_u32_u24_dpp v44, v19, v68 row_newbcast:13 row_mask:0xf bank_mask:0xf// 000000007DE4: 105888FA FF015D13
	v_add_u32_e32 v33, v41, v7                                 // 000000007DEC: 68420F29
	v_add_u32_e32 v34, v42, v7                                 // 000000007DF0: 68440F2A
	v_add_u32_e32 v35, v43, v7                                 // 000000007DF4: 68460F2B
	v_add_u32_e32 v36, v44, v7                                 // 000000007DF8: 68480F2C
	v_mul_f32_e32 v224, v63, v224                              // 000000007DFC: 0BC1C13F
	v_mul_f32_e32 v225, v63, v225                              // 000000007E00: 0BC3C33F
	v_mul_f32_e32 v226, v63, v226                              // 000000007E04: 0BC5C53F
	v_mul_f32_e32 v227, v63, v227                              // 000000007E08: 0BC7C73F
	v_mul_f32_e32 v228, v63, v228                              // 000000007E0C: 0BC9C93F
	v_mul_f32_e32 v229, v63, v229                              // 000000007E10: 0BCBCB3F
	v_mul_f32_e32 v230, v63, v230                              // 000000007E14: 0BCDCD3F
	v_mul_f32_e32 v231, v63, v231                              // 000000007E18: 0BCFCF3F
	s_waitcnt lgkmcnt(0)                                       // 000000007E1C: BF8CC07F
	s_barrier                                                  // 000000007E20: BF8A0000
	ds_read_b32 v80, v10 offset:16896                          // 000000007E24: D86C4200 5000000A
	ds_read_b32 v81, v10 offset:16960                          // 000000007E2C: D86C4240 5100000A
	ds_read_b32 v82, v10 offset:17024                          // 000000007E34: D86C4280 5200000A
	ds_read_b32 v83, v10 offset:17088                          // 000000007E3C: D86C42C0 5300000A
	ds_read_b32 v84, v10 offset:17152                          // 000000007E44: D86C4300 5400000A
	ds_read_b32 v85, v10 offset:17216                          // 000000007E4C: D86C4340 5500000A
	ds_read_b32 v86, v10 offset:17280                          // 000000007E54: D86C4380 5600000A
	ds_read_b32 v87, v10 offset:17344                          // 000000007E5C: D86C43C0 5700000A
	ds_read_b32 v88, v10 offset:17408                          // 000000007E64: D86C4400 5800000A
	ds_read_b32 v89, v10 offset:17472                          // 000000007E6C: D86C4440 5900000A
	ds_read_b32 v90, v10 offset:17536                          // 000000007E74: D86C4480 5A00000A
	ds_read_b32 v91, v10 offset:17600                          // 000000007E7C: D86C44C0 5B00000A
	ds_read_b32 v92, v10 offset:17664                          // 000000007E84: D86C4500 5C00000A
	ds_read_b32 v93, v10 offset:17728                          // 000000007E8C: D86C4540 5D00000A
	ds_read_b32 v94, v10 offset:17792                          // 000000007E94: D86C4580 5E00000A
	ds_read_b32 v95, v10 offset:17856                          // 000000007E9C: D86C45C0 5F00000A
	buffer_load_dwordx4 a[28:31], v28, s[16:19], 0 offen offset:1024// 000000007EA4: E05C1400 80841C1C
	v_mul_f32_e32 v192, v58, v192                              // 000000007EAC: 0B81813A
	v_mul_f32_e32 v193, v58, v193                              // 000000007EB0: 0B83833A
	v_mul_f32_e32 v194, v58, v194                              // 000000007EB4: 0B85853A
	v_mul_f32_e32 v195, v58, v195                              // 000000007EB8: 0B87873A
	v_mul_f32_e32 v196, v58, v196                              // 000000007EBC: 0B89893A
	v_mul_f32_e32 v197, v58, v197                              // 000000007EC0: 0B8B8B3A
	v_mul_f32_e32 v198, v58, v198                              // 000000007EC4: 0B8D8D3A
	v_mul_f32_e32 v199, v58, v199                              // 000000007EC8: 0B8F8F3A
	s_waitcnt lgkmcnt(0)                                       // 000000007ECC: BF8CC07F
	v_max3_f32 v62, v80, v81, v62                              // 000000007ED0: D1D3003E 04FAA350
	v_max3_f32 v62, v82, v83, v62                              // 000000007ED8: D1D3003E 04FAA752
	v_max3_f32 v62, v84, v85, v62                              // 000000007EE0: D1D3003E 04FAAB54
	v_max3_f32 v62, v86, v87, v62                              // 000000007EE8: D1D3003E 04FAAF56
	v_max3_f32 v62, v88, v89, v62                              // 000000007EF0: D1D3003E 04FAB358
	v_max3_f32 v62, v90, v91, v62                              // 000000007EF8: D1D3003E 04FAB75A
	v_max3_f32 v62, v92, v93, v62                              // 000000007F00: D1D3003E 04FABB5C
	v_max3_f32 v62, v94, v95, v62                              // 000000007F08: D1D3003E 04FABF5E
	buffer_load_dwordx4 a[64:67], v33, s[20:23], 0 offen       // 000000007F10: E05C1000 80854021
	v_mov_b32_e32 v41, 0xff800000                              // 000000007F18: 7E5202FF FF800000
	v_cmp_eq_u32_e64 s[40:41], v41, v14                        // 000000007F20: D0CA0028 00021D29
	s_nop 1                                                    // 000000007F28: BF800001
	v_max_f32_e32 v18, v62, v14                                // 000000007F2C: 16241D3E
	v_mul_f32_e32 v67, s64, v18                                // 000000007F30: 0A862440
	v_fma_f32 v128, v128, s64, -v67                            // 000000007F34: D1CB0080 850C8180
	v_fma_f32 v129, v129, s64, -v67                            // 000000007F3C: D1CB0081 850C8181
	v_fma_f32 v130, v130, s64, -v67                            // 000000007F44: D1CB0082 850C8182
	v_fma_f32 v131, v131, s64, -v67                            // 000000007F4C: D1CB0083 850C8183
	v_fma_f32 v132, v132, s64, -v67                            // 000000007F54: D1CB0084 850C8184
	v_fma_f32 v133, v133, s64, -v67                            // 000000007F5C: D1CB0085 850C8185
	v_fma_f32 v134, v134, s64, -v67                            // 000000007F64: D1CB0086 850C8186
	v_fma_f32 v135, v135, s64, -v67                            // 000000007F6C: D1CB0087 850C8187
	v_fma_f32 v136, v136, s64, -v67                            // 000000007F74: D1CB0088 850C8188
	v_fma_f32 v137, v137, s64, -v67                            // 000000007F7C: D1CB0089 850C8189
	v_fma_f32 v138, v138, s64, -v67                            // 000000007F84: D1CB008A 850C818A
	v_fma_f32 v139, v139, s64, -v67                            // 000000007F8C: D1CB008B 850C818B
	v_fma_f32 v140, v140, s64, -v67                            // 000000007F94: D1CB008C 850C818C
	v_fma_f32 v141, v141, s64, -v67                            // 000000007F9C: D1CB008D 850C818D
	v_fma_f32 v142, v142, s64, -v67                            // 000000007FA4: D1CB008E 850C818E
	v_fma_f32 v143, v143, s64, -v67                            // 000000007FAC: D1CB008F 850C818F
	buffer_load_dwordx4 a[68:71], v34, s[20:23], 0 offen       // 000000007FB4: E05C1000 80854422
	v_exp_f32_e32 v128, v128                                   // 000000007FBC: 7F004180
	v_exp_f32_e32 v129, v129                                   // 000000007FC0: 7F024181
	v_exp_f32_e32 v130, v130                                   // 000000007FC4: 7F044182
	v_exp_f32_e32 v131, v131                                   // 000000007FC8: 7F064183
	v_exp_f32_e32 v132, v132                                   // 000000007FCC: 7F084184
	v_exp_f32_e32 v133, v133                                   // 000000007FD0: 7F0A4185
	v_exp_f32_e32 v134, v134                                   // 000000007FD4: 7F0C4186
	v_exp_f32_e32 v135, v135                                   // 000000007FD8: 7F0E4187
	v_exp_f32_e32 v136, v136                                   // 000000007FDC: 7F104188
	v_exp_f32_e32 v137, v137                                   // 000000007FE0: 7F124189
	v_exp_f32_e32 v138, v138                                   // 000000007FE4: 7F14418A
	v_exp_f32_e32 v139, v139                                   // 000000007FE8: 7F16418B
	v_exp_f32_e32 v140, v140                                   // 000000007FEC: 7F18418C
	v_exp_f32_e32 v141, v141                                   // 000000007FF0: 7F1A418D
	v_exp_f32_e32 v142, v142                                   // 000000007FF4: 7F1C418E
	v_exp_f32_e32 v143, v143                                   // 000000007FF8: 7F1E418F
	buffer_load_dwordx4 a[72:75], v35, s[20:23], 0 offen       // 000000007FFC: E05C1000 80854823
	v_mul_f32_dpp v240, v252, v128 quad_perm:[0,0,0,0] row_mask:0xf bank_mask:0xf// 000000008004: 0BE100FA FF0000FC
	v_mul_f32_dpp v241, v252, v129 quad_perm:[1,1,1,1] row_mask:0xf bank_mask:0xf// 00000000800C: 0BE302FA FF0055FC
	v_mul_f32_dpp v242, v252, v130 quad_perm:[2,2,2,2] row_mask:0xf bank_mask:0xf// 000000008014: 0BE504FA FF00AAFC
	v_mul_f32_dpp v243, v252, v131 quad_perm:[3,3,3,3] row_mask:0xf bank_mask:0xf// 00000000801C: 0BE706FA FF00FFFC
	v_mul_f32_dpp v244, v253, v132 quad_perm:[0,0,0,0] row_mask:0xf bank_mask:0xf// 000000008024: 0BE908FA FF0000FD
	v_mul_f32_dpp v245, v253, v133 quad_perm:[1,1,1,1] row_mask:0xf bank_mask:0xf// 00000000802C: 0BEB0AFA FF0055FD
	v_mul_f32_dpp v246, v253, v134 quad_perm:[2,2,2,2] row_mask:0xf bank_mask:0xf// 000000008034: 0BED0CFA FF00AAFD
	v_mul_f32_dpp v247, v253, v135 quad_perm:[3,3,3,3] row_mask:0xf bank_mask:0xf// 00000000803C: 0BEF0EFA FF00FFFD
	v_mul_f32_dpp v248, v254, v136 quad_perm:[0,0,0,0] row_mask:0xf bank_mask:0xf// 000000008044: 0BF110FA FF0000FE
	v_mul_f32_dpp v249, v254, v137 quad_perm:[1,1,1,1] row_mask:0xf bank_mask:0xf// 00000000804C: 0BF312FA FF0055FE
	v_mul_f32_dpp v250, v254, v138 quad_perm:[2,2,2,2] row_mask:0xf bank_mask:0xf// 000000008054: 0BF514FA FF00AAFE
	v_mul_f32_dpp v251, v254, v139 quad_perm:[3,3,3,3] row_mask:0xf bank_mask:0xf// 00000000805C: 0BF716FA FF00FFFE
	v_mul_f32_dpp v252, v255, v140 quad_perm:[0,0,0,0] row_mask:0xf bank_mask:0xf// 000000008064: 0BF918FA FF0000FF
	v_mul_f32_dpp v253, v255, v141 quad_perm:[1,1,1,1] row_mask:0xf bank_mask:0xf// 00000000806C: 0BFB1AFA FF0055FF
	v_mul_f32_dpp v254, v255, v142 quad_perm:[2,2,2,2] row_mask:0xf bank_mask:0xf// 000000008074: 0BFD1CFA FF00AAFF
	v_mul_f32_dpp v255, v255, v143 quad_perm:[3,3,3,3] row_mask:0xf bank_mask:0xf// 00000000807C: 0BFF1EFA FF00FFFF
	v_mov_b32_e32 v62, 0x358637bd                              // 000000008084: 7E7C02FF 358637BD
	v_max3_f32 v62, |v240|, |v241|, v62                        // 00000000808C: D1D3033E 04FBE3F0
	v_max3_f32 v62, |v242|, |v243|, v62                        // 000000008094: D1D3033E 04FBE7F2
	v_max3_f32 v62, |v244|, |v245|, v62                        // 00000000809C: D1D3033E 04FBEBF4
	v_max3_f32 v62, |v246|, |v247|, v62                        // 0000000080A4: D1D3033E 04FBEFF6
	v_max3_f32 v62, |v248|, |v249|, v62                        // 0000000080AC: D1D3033E 04FBF3F8
	v_max3_f32 v62, |v250|, |v251|, v62                        // 0000000080B4: D1D3033E 04FBF7FA
	v_max3_f32 v62, |v252|, |v253|, v62                        // 0000000080BC: D1D3033E 04FBFBFC
	v_max3_f32 v62, |v254|, |v255|, v62                        // 0000000080C4: D1D3033E 04FBFFFE
	buffer_load_dwordx4 a[76:79], v36, s[20:23], 0 offen       // 0000000080CC: E05C1000 80854C24
	ds_write_b32 v11, v62 offset:20992                         // 0000000080D4: D81A5200 00003E0B
	v_sub_f32_e32 v63, v14, v18                                // 0000000080DC: 047E250E
	v_cndmask_b32_e64 v63, v63, 0, s[40:41]                    // 0000000080E0: D100003F 00A1013F
	v_mov_b32_e32 v14, v18                                     // 0000000080E8: 7E1C0312
	v_mul_f32_e32 v63, s64, v63                                // 0000000080EC: 0A7E7E40
	v_exp_f32_e32 v63, v63                                     // 0000000080F0: 7E7E413F
	s_waitcnt lgkmcnt(0)                                       // 0000000080F4: BF8CC07F
	s_barrier                                                  // 0000000080F8: BF8A0000
	ds_read_b32 v80, v10 offset:20992                          // 0000000080FC: D86C5200 5000000A
	ds_read_b32 v81, v10 offset:21056                          // 000000008104: D86C5240 5100000A
	ds_read_b32 v82, v10 offset:21120                          // 00000000810C: D86C5280 5200000A
	ds_read_b32 v83, v10 offset:21184                          // 000000008114: D86C52C0 5300000A
	ds_read_b32 v84, v10 offset:21248                          // 00000000811C: D86C5300 5400000A
	ds_read_b32 v85, v10 offset:21312                          // 000000008124: D86C5340 5500000A
	ds_read_b32 v86, v10 offset:21376                          // 00000000812C: D86C5380 5600000A
	ds_read_b32 v87, v10 offset:21440                          // 000000008134: D86C53C0 5700000A
	ds_read_b32 v88, v10 offset:21504                          // 00000000813C: D86C5400 5800000A
	ds_read_b32 v89, v10 offset:21568                          // 000000008144: D86C5440 5900000A
	ds_read_b32 v90, v10 offset:21632                          // 00000000814C: D86C5480 5A00000A
	ds_read_b32 v91, v10 offset:21696                          // 000000008154: D86C54C0 5B00000A
	ds_read_b32 v92, v10 offset:21760                          // 00000000815C: D86C5500 5C00000A
	ds_read_b32 v93, v10 offset:21824                          // 000000008164: D86C5540 5D00000A
	ds_read_b32 v94, v10 offset:21888                          // 00000000816C: D86C5580 5E00000A
	ds_read_b32 v95, v10 offset:21952                          // 000000008174: D86C55C0 5F00000A
	v_mul_f32_e32 v47, v63, v47                                // 00000000817C: 0A5E5F3F
	v_mov_b32_e32 v18, v128                                    // 000000008180: 7E240380
	v_add_f32_e32 v18, v129, v18                               // 000000008184: 02242581
	v_add_f32_e32 v18, v130, v18                               // 000000008188: 02242582
	v_add_f32_e32 v18, v131, v18                               // 00000000818C: 02242583
	v_add_f32_e32 v18, v132, v18                               // 000000008190: 02242584
	v_add_f32_e32 v18, v133, v18                               // 000000008194: 02242585
	;; [unrolled: 1-line block ×3, first 2 shown]
	v_add_f32_e32 v18, v135, v18                               // 00000000819C: 02242587
	v_add_f32_e32 v18, v136, v18                               // 0000000081A0: 02242588
	v_add_f32_e32 v18, v137, v18                               // 0000000081A4: 02242589
	v_add_f32_e32 v18, v138, v18                               // 0000000081A8: 0224258A
	v_add_f32_e32 v18, v139, v18                               // 0000000081AC: 0224258B
	v_add_f32_e32 v18, v140, v18                               // 0000000081B0: 0224258C
	v_add_f32_e32 v18, v141, v18                               // 0000000081B4: 0224258D
	v_add_f32_e32 v18, v142, v18                               // 0000000081B8: 0224258E
	v_add_f32_e32 v18, v143, v18                               // 0000000081BC: 0224258F
	v_add_f32_e32 v47, v18, v47                                // 0000000081C0: 025E5F12
	s_waitcnt lgkmcnt(0)                                       // 0000000081C4: BF8CC07F
	v_max3_f32 v62, |v80|, |v81|, v62                          // 0000000081C8: D1D3033E 04FAA350
	v_max3_f32 v62, |v82|, |v83|, v62                          // 0000000081D0: D1D3033E 04FAA752
	v_max3_f32 v62, |v84|, |v85|, v62                          // 0000000081D8: D1D3033E 04FAAB54
	v_max3_f32 v62, |v86|, |v87|, v62                          // 0000000081E0: D1D3033E 04FAAF56
	v_max3_f32 v62, |v88|, |v89|, v62                          // 0000000081E8: D1D3033E 04FAB358
	v_max3_f32 v62, |v90|, |v91|, v62                          // 0000000081F0: D1D3033E 04FAB75A
	v_max3_f32 v62, |v92|, |v93|, v62                          // 0000000081F8: D1D3033E 04FABB5C
	v_max3_f32 v62, |v94|, |v95|, v62                          // 000000008200: D1D3033E 04FABF5E
	s_nop 2                                                    // 000000008208: BF800002
	v_rcp_f32_e32 v62, v62                                     // 00000000820C: 7E7C453E
	s_nop 1                                                    // 000000008210: BF800001
	v_mul_f32_e32 v62, 0x43700000, v62                         // 000000008214: 0A7C7CFF 43700000
	v_mul_f32_e32 v128, v62, v240                              // 00000000821C: 0B01E13E
	v_mul_f32_e32 v129, v62, v241                              // 000000008220: 0B03E33E
	v_mul_f32_e32 v130, v62, v242                              // 000000008224: 0B05E53E
	v_mul_f32_e32 v131, v62, v243                              // 000000008228: 0B07E73E
	v_mul_f32_e32 v132, v62, v244                              // 00000000822C: 0B09E93E
	v_mul_f32_e32 v133, v62, v245                              // 000000008230: 0B0BEB3E
	v_mul_f32_e32 v134, v62, v246                              // 000000008234: 0B0DED3E
	v_mul_f32_e32 v135, v62, v247                              // 000000008238: 0B0FEF3E
	v_mul_f32_e32 v136, v62, v248                              // 00000000823C: 0B11F13E
	v_mul_f32_e32 v137, v62, v249                              // 000000008240: 0B13F33E
	v_mul_f32_e32 v138, v62, v250                              // 000000008244: 0B15F53E
	v_mul_f32_e32 v139, v62, v251                              // 000000008248: 0B17F73E
	v_mul_f32_e32 v140, v62, v252                              // 00000000824C: 0B19F93E
	v_mul_f32_e32 v141, v62, v253                              // 000000008250: 0B1BFB3E
	v_mul_f32_e32 v142, v62, v254                              // 000000008254: 0B1DFD3E
	v_mul_f32_e32 v143, v62, v255                              // 000000008258: 0B1FFF3E
	v_cvt_pk_fp8_f32 v128, v128, v129                          // 00000000825C: D2A20080 00030380
	v_cvt_pk_fp8_f32 v128, v130, v131 op_sel:[0,0,1]           // 000000008264: D2A24080 00030782
	v_cvt_pk_fp8_f32 v129, v132, v133                          // 00000000826C: D2A20081 00030B84
	v_cvt_pk_fp8_f32 v129, v134, v135 op_sel:[0,0,1]           // 000000008274: D2A24081 00030F86
	v_cvt_pk_fp8_f32 v130, v136, v137                          // 00000000827C: D2A20082 00031388
	v_cvt_pk_fp8_f32 v130, v138, v139 op_sel:[0,0,1]           // 000000008284: D2A24082 0003178A
	v_cvt_pk_fp8_f32 v131, v140, v141                          // 00000000828C: D2A20083 00031B8C
	v_cvt_pk_fp8_f32 v131, v142, v143 op_sel:[0,0,1]           // 000000008294: D2A24083 00031F8E
	ds_write_b32 v13, v128 offset:25088                        // 00000000829C: D81A6200 0000800D
	ds_write_b32 v13, v129 offset:26112                        // 0000000082A4: D81A6600 0000810D
	ds_write_b32 v13, v130 offset:27136                        // 0000000082AC: D81A6A00 0000820D
	ds_write_b32 v13, v131 offset:28160                        // 0000000082B4: D81A6E00 0000830D
	v_add_f32_e32 v224, v224, v192                             // 0000000082BC: 03C181E0
	v_add_f32_e32 v225, v225, v193                             // 0000000082C0: 03C383E1
	v_add_f32_e32 v226, v226, v194                             // 0000000082C4: 03C585E2
	v_add_f32_e32 v227, v227, v195                             // 0000000082C8: 03C787E3
	v_add_f32_e32 v228, v228, v196                             // 0000000082CC: 03C989E4
	v_add_f32_e32 v229, v229, v197                             // 0000000082D0: 03CB8BE5
	v_add_f32_e32 v230, v230, v198                             // 0000000082D4: 03CD8DE6
	v_add_f32_e32 v231, v231, v199                             // 0000000082D8: 03CF8FE7
	v_rcp_f32_e32 v58, v62                                     // 0000000082DC: 7E74453E
	s_waitcnt lgkmcnt(0)                                       // 0000000082E0: BF8CC07F
	s_barrier                                                  // 0000000082E4: BF8A0000
	ds_read_b64 v[128:129], v12 offset:25088                   // 0000000082E8: D8EC6200 8000000C
	ds_read_b64 v[130:131], v12 offset:25216                   // 0000000082F0: D8EC6280 8200000C
	ds_read_b64 v[132:133], v12 offset:26112                   // 0000000082F8: D8EC6600 8400000C
	ds_read_b64 v[134:135], v12 offset:26240                   // 000000008300: D8EC6680 8600000C
	ds_read_b64 v[136:137], v12 offset:27136                   // 000000008308: D8EC6A00 8800000C
	ds_read_b64 v[138:139], v12 offset:27264                   // 000000008310: D8EC6A80 8A00000C
	ds_read_b64 v[140:141], v12 offset:28160                   // 000000008318: D8EC6E00 8C00000C
	ds_read_b64 v[142:143], v12 offset:28288                   // 000000008320: D8EC6E80 8E00000C
	s_waitcnt vmcnt(15)                                        // 000000008328: BF8C0F7F
	s_waitcnt lgkmcnt(7)                                       // 00000000832C: BF8CC77F
	v_mfma_f32_16x16x32_fp8_fp8 v[192:195], a[96:97], v[128:129], 0// 000000008330: D3F300C0 0A030160
	buffer_load_dwordx4 a[80:83], v33, s[20:23], 0 offen offset:1024// 000000008338: E05C1400 80855021
	s_waitcnt lgkmcnt(6)                                       // 000000008340: BF8CC67F
	v_mfma_f32_16x16x32_fp8_fp8 v[192:195], a[98:99], v[130:131], v[192:195]// 000000008344: D3F300C0 0F030562
	s_waitcnt lgkmcnt(5)                                       // 00000000834C: BF8CC57F
	v_mfma_f32_16x16x32_fp8_fp8 v[192:195], a[100:101], v[132:133], v[192:195]// 000000008350: D3F300C0 0F030964
	s_waitcnt lgkmcnt(4)                                       // 000000008358: BF8CC47F
	v_mfma_f32_16x16x32_fp8_fp8 v[192:195], a[102:103], v[134:135], v[192:195]// 00000000835C: D3F300C0 0F030D66
	s_waitcnt lgkmcnt(3)                                       // 000000008364: BF8CC37F
	v_mfma_f32_16x16x32_fp8_fp8 v[192:195], a[104:105], v[136:137], v[192:195]// 000000008368: D3F300C0 0F031168
	buffer_load_dwordx4 a[84:87], v34, s[20:23], 0 offen offset:1024// 000000008370: E05C1400 80855422
	s_waitcnt lgkmcnt(2)                                       // 000000008378: BF8CC27F
	v_mfma_f32_16x16x32_fp8_fp8 v[192:195], a[106:107], v[138:139], v[192:195]// 00000000837C: D3F300C0 0F03156A
	s_waitcnt lgkmcnt(1)                                       // 000000008384: BF8CC17F
	v_mfma_f32_16x16x32_fp8_fp8 v[192:195], a[108:109], v[140:141], v[192:195]// 000000008388: D3F300C0 0F03196C
	s_waitcnt lgkmcnt(0)                                       // 000000008390: BF8CC07F
	v_mfma_f32_16x16x32_fp8_fp8 v[192:195], a[110:111], v[142:143], v[192:195]// 000000008394: D3F300C0 0F031D6E
	v_mfma_f32_16x16x32_fp8_fp8 v[196:199], a[112:113], v[128:129], 0// 00000000839C: D3F300C4 0A030170
	buffer_load_dwordx4 a[88:91], v35, s[20:23], 0 offen offset:1024// 0000000083A4: E05C1400 80855823
	v_mfma_f32_16x16x32_fp8_fp8 v[196:199], a[114:115], v[130:131], v[196:199]// 0000000083AC: D3F300C4 0F130572
	v_mfma_f32_16x16x32_fp8_fp8 v[196:199], a[116:117], v[132:133], v[196:199]// 0000000083B4: D3F300C4 0F130974
	v_mfma_f32_16x16x32_fp8_fp8 v[196:199], a[118:119], v[134:135], v[196:199]// 0000000083BC: D3F300C4 0F130D76
	v_mfma_f32_16x16x32_fp8_fp8 v[196:199], a[120:121], v[136:137], v[196:199]// 0000000083C4: D3F300C4 0F131178
	buffer_load_dwordx4 a[92:95], v36, s[20:23], 0 offen offset:1024// 0000000083CC: E05C1400 80855C24
	v_mfma_f32_16x16x32_fp8_fp8 v[196:199], a[122:123], v[138:139], v[196:199]// 0000000083D4: D3F300C4 0F13157A
	v_mfma_f32_16x16x32_fp8_fp8 v[196:199], a[124:125], v[140:141], v[196:199]// 0000000083DC: D3F300C4 0F13197C
	s_lshr_b32 s57, s70, 4                                     // 0000000083E4: 8F398446
	s_add_u32 s57, 48, s57                                     // 0000000083E8: 803939B0
	v_mfma_f32_16x16x32_fp8_fp8 v[196:199], a[126:127], v[142:143], v[196:199]// 0000000083EC: D3F300C4 0F131D7E
	s_cmp_ge_u32 s57, s73                                      // 0000000083F4: BF094939
	s_cselect_b32 s56, 0, s56                                  // 0000000083F8: 85383880
	v_add_u32_e32 v1, s56, v1                                  // 0000000083FC: 68020238
	s_addk_i32 s70, 0x100                                      // 000000008400: B7460100
	s_cmp_lt_i32 s70, s71                                      // 000000008404: BF044746
	s_cbranch_scc0 label_13E4                                  // 000000008408: BF84FB61
	s_branch label_13E7                                        // 00000000840C: BF82FB63

0000000000008410 <label_1884>:
	s_lshr_b32 s60, s71, 4                                     // 000000008410: 8F3C8447
	s_cmp_eq_i32 s60, s73                                      // 000000008414: BF00493C
	s_cbranch_scc1 label_1D87                                  // 000000008418: BF850500
	s_lshr_b32 s60, s71, 8                                     // 00000000841C: 8F3C8847
	s_and_b32 s60, s60, 1                                      // 000000008420: 863C813C
	s_cmp_eq_i32 s60, 1                                        // 000000008424: BF00813C
	s_cbranch_scc1 label_1B09                                  // 000000008428: BF85027E
	s_waitcnt vmcnt(8) lgkmcnt(0)                              // 00000000842C: BF8C0078
	s_barrier                                                  // 000000008430: BF8A0000
	v_mfma_f32_16x16x32_fp8_fp8 v[128:131], a[0:1], v[96:97], 0// 000000008434: D3F30080 0A02C100
	v_mfma_f32_16x16x32_fp8_fp8 v[128:131], a[2:3], v[98:99], v[128:131]// 00000000843C: D3F30080 0E02C502
	v_mfma_f32_16x16x32_fp8_fp8 v[128:131], a[4:5], v[100:101], v[128:131]// 000000008444: D3F30080 0E02C904
	v_mfma_f32_16x16x32_fp8_fp8 v[128:131], a[6:7], v[102:103], v[128:131]// 00000000844C: D3F30080 0E02CD06
	v_mfma_f32_16x16x32_fp8_fp8 v[132:135], a[8:9], v[96:97], 0// 000000008454: D3F30084 0A02C108
	v_mfma_f32_16x16x32_fp8_fp8 v[132:135], a[10:11], v[98:99], v[132:135]// 00000000845C: D3F30084 0E12C50A
	v_mfma_f32_16x16x32_fp8_fp8 v[132:135], a[12:13], v[100:101], v[132:135]// 000000008464: D3F30084 0E12C90C
	v_mfma_f32_16x16x32_fp8_fp8 v[132:135], a[14:15], v[102:103], v[132:135]// 00000000846C: D3F30084 0E12CD0E
	v_mfma_f32_16x16x32_fp8_fp8 v[136:139], a[16:17], v[96:97], 0// 000000008474: D3F30088 0A02C110
	v_mfma_f32_16x16x32_fp8_fp8 v[136:139], a[18:19], v[98:99], v[136:139]// 00000000847C: D3F30088 0E22C512
	v_mfma_f32_16x16x32_fp8_fp8 v[136:139], a[20:21], v[100:101], v[136:139]// 000000008484: D3F30088 0E22C914
	v_mfma_f32_16x16x32_fp8_fp8 v[136:139], a[22:23], v[102:103], v[136:139]// 00000000848C: D3F30088 0E22CD16
	v_mfma_f32_16x16x32_fp8_fp8 v[140:143], a[24:25], v[96:97], 0// 000000008494: D3F3008C 0A02C118
	v_mfma_f32_16x16x32_fp8_fp8 v[140:143], a[26:27], v[98:99], v[140:143]// 00000000849C: D3F3008C 0E32C51A
	v_mfma_f32_16x16x32_fp8_fp8 v[140:143], a[28:29], v[100:101], v[140:143]// 0000000084A4: D3F3008C 0E32C91C
	v_mfma_f32_16x16x32_fp8_fp8 v[140:143], a[30:31], v[102:103], v[140:143]// 0000000084AC: D3F3008C 0E32CD1E
	v_mov_b32_dpp v41, v52 row_shr:4 row_mask:0xf bank_mask:0xf// 0000000084B4: 7E5202FA FF011434
	v_mov_b32_dpp v42, v52 row_shl:4 row_mask:0xf bank_mask:0xf// 0000000084BC: 7E5402FA FF010434
	v_cndmask_b32_e64 v248, v52, v41, s[44:45]                 // 0000000084C4: D10000F8 00B25334
	v_cndmask_b32_e64 v249, v42, v52, s[44:45]                 // 0000000084CC: D10000F9 00B2692A
	v_mov_b32_dpp v41, v248 row_shr:8 row_mask:0xf bank_mask:0xf// 0000000084D4: 7E5202FA FF0118F8
	v_mov_b32_dpp v42, v248 row_shl:8 row_mask:0xf bank_mask:0xf// 0000000084DC: 7E5402FA FF0108F8
	v_mov_b32_dpp v43, v249 row_shr:8 row_mask:0xf bank_mask:0xf// 0000000084E4: 7E5602FA FF0118F9
	v_mov_b32_dpp v44, v249 row_shl:8 row_mask:0xf bank_mask:0xf// 0000000084EC: 7E5802FA FF0108F9
	v_mov_b32_e32 v45, v248                                    // 0000000084F4: 7E5A03F8
	v_mov_b32_e32 v46, v249                                    // 0000000084F8: 7E5C03F9
	v_cndmask_b32_e64 v248, v45, v41, s[42:43]                 // 0000000084FC: D10000F8 00AA532D
	v_cndmask_b32_e64 v250, v45, v42, s[78:79]                 // 000000008504: D10000FA 013A552D
	v_cndmask_b32_e64 v249, v46, v43, s[42:43]                 // 00000000850C: D10000F9 00AA572E
	v_cndmask_b32_e64 v251, v46, v44, s[78:79]                 // 000000008514: D10000FB 013A592E
	v_mov_b32_dpp v41, v72 row_shr:4 row_mask:0xf bank_mask:0xf// 00000000851C: 7E5202FA FF011448
	v_mov_b32_dpp v42, v72 row_shl:4 row_mask:0xf bank_mask:0xf// 000000008524: 7E5402FA FF010448
	v_cndmask_b32_e64 v252, v72, v41, s[44:45]                 // 00000000852C: D10000FC 00B25348
	v_cndmask_b32_e64 v253, v42, v72, s[44:45]                 // 000000008534: D10000FD 00B2912A
	v_mov_b32_dpp v41, v252 row_shr:8 row_mask:0xf bank_mask:0xf// 00000000853C: 7E5202FA FF0118FC
	v_mov_b32_dpp v42, v252 row_shl:8 row_mask:0xf bank_mask:0xf// 000000008544: 7E5402FA FF0108FC
	v_mov_b32_dpp v43, v253 row_shr:8 row_mask:0xf bank_mask:0xf// 00000000854C: 7E5602FA FF0118FD
	v_mov_b32_dpp v44, v253 row_shl:8 row_mask:0xf bank_mask:0xf// 000000008554: 7E5802FA FF0108FD
	v_mov_b32_e32 v45, v252                                    // 00000000855C: 7E5A03FC
	v_mov_b32_e32 v46, v253                                    // 000000008560: 7E5C03FD
	v_cndmask_b32_e64 v252, v45, v41, s[42:43]                 // 000000008564: D10000FC 00AA532D
	v_cndmask_b32_e64 v254, v45, v42, s[78:79]                 // 00000000856C: D10000FE 013A552D
	v_cndmask_b32_e64 v253, v46, v43, s[42:43]                 // 000000008574: D10000FD 00AA572E
	v_cndmask_b32_e64 v255, v46, v44, s[78:79]                 // 00000000857C: D10000FF 013A592E
	v_mul_f32_e32 v128, v54, v128                              // 000000008584: 0B010136
	v_mul_f32_e32 v129, v54, v129                              // 000000008588: 0B030336
	v_mul_f32_e32 v130, v54, v130                              // 00000000858C: 0B050536
	v_mul_f32_e32 v131, v54, v131                              // 000000008590: 0B070736
	v_mul_f32_e32 v132, v54, v132                              // 000000008594: 0B090936
	v_mul_f32_e32 v133, v54, v133                              // 000000008598: 0B0B0B36
	v_mul_f32_e32 v134, v54, v134                              // 00000000859C: 0B0D0D36
	v_mul_f32_e32 v135, v54, v135                              // 0000000085A0: 0B0F0F36
	v_mul_f32_e32 v136, v54, v136                              // 0000000085A4: 0B111136
	v_mul_f32_e32 v137, v54, v137                              // 0000000085A8: 0B131336
	v_mul_f32_e32 v138, v54, v138                              // 0000000085AC: 0B151536
	v_mul_f32_e32 v139, v54, v139                              // 0000000085B0: 0B171736
	v_mul_f32_e32 v140, v54, v140                              // 0000000085B4: 0B191936
	v_mul_f32_e32 v141, v54, v141                              // 0000000085B8: 0B1B1B36
	v_mul_f32_e32 v142, v54, v142                              // 0000000085BC: 0B1D1D36
	v_mul_f32_e32 v143, v54, v143                              // 0000000085C0: 0B1F1F36
	v_mul_f32_dpp v128, v248, v128 quad_perm:[0,0,0,0] row_mask:0xf bank_mask:0xf// 0000000085C4: 0B0100FA FF0000F8
	v_mul_f32_dpp v129, v248, v129 quad_perm:[1,1,1,1] row_mask:0xf bank_mask:0xf// 0000000085CC: 0B0302FA FF0055F8
	v_mul_f32_dpp v130, v248, v130 quad_perm:[2,2,2,2] row_mask:0xf bank_mask:0xf// 0000000085D4: 0B0504FA FF00AAF8
	v_mul_f32_dpp v131, v248, v131 quad_perm:[3,3,3,3] row_mask:0xf bank_mask:0xf// 0000000085DC: 0B0706FA FF00FFF8
	v_mul_f32_dpp v132, v249, v132 quad_perm:[0,0,0,0] row_mask:0xf bank_mask:0xf// 0000000085E4: 0B0908FA FF0000F9
	v_mul_f32_dpp v133, v249, v133 quad_perm:[1,1,1,1] row_mask:0xf bank_mask:0xf// 0000000085EC: 0B0B0AFA FF0055F9
	v_mul_f32_dpp v134, v249, v134 quad_perm:[2,2,2,2] row_mask:0xf bank_mask:0xf// 0000000085F4: 0B0D0CFA FF00AAF9
	v_mul_f32_dpp v135, v249, v135 quad_perm:[3,3,3,3] row_mask:0xf bank_mask:0xf// 0000000085FC: 0B0F0EFA FF00FFF9
	v_mul_f32_dpp v136, v250, v136 quad_perm:[0,0,0,0] row_mask:0xf bank_mask:0xf// 000000008604: 0B1110FA FF0000FA
	v_mul_f32_dpp v137, v250, v137 quad_perm:[1,1,1,1] row_mask:0xf bank_mask:0xf// 00000000860C: 0B1312FA FF0055FA
	v_mul_f32_dpp v138, v250, v138 quad_perm:[2,2,2,2] row_mask:0xf bank_mask:0xf// 000000008614: 0B1514FA FF00AAFA
	v_mul_f32_dpp v139, v250, v139 quad_perm:[3,3,3,3] row_mask:0xf bank_mask:0xf// 00000000861C: 0B1716FA FF00FFFA
	v_mul_f32_dpp v140, v251, v140 quad_perm:[0,0,0,0] row_mask:0xf bank_mask:0xf// 000000008624: 0B1918FA FF0000FB
	v_mul_f32_dpp v141, v251, v141 quad_perm:[1,1,1,1] row_mask:0xf bank_mask:0xf// 00000000862C: 0B1B1AFA FF0055FB
	v_mul_f32_dpp v142, v251, v142 quad_perm:[2,2,2,2] row_mask:0xf bank_mask:0xf// 000000008634: 0B1D1CFA FF00AAFB
	v_mul_f32_dpp v143, v251, v143 quad_perm:[3,3,3,3] row_mask:0xf bank_mask:0xf// 00000000863C: 0B1F1EFA FF00FFFB
	s_and_b32 s60, s72, 0xff                                   // 000000008644: 863CFF48 000000FF
	v_mov_b32_e32 v42, s60                                     // 00000000864C: 7E54023C
	v_lshrrev_b32_e32 v240, 4, v0                              // 000000008650: 21E00084
	v_mul_i32_i24_e32 v240, 4, v240                            // 000000008654: 0DE1E084
	s_mul_i32 s60, s7, 16                                      // 000000008658: 923C9007
	v_add_u32_e32 v240, s60, v240                              // 00000000865C: 69E1E03C
	v_add_u32_e32 v241, 1, v240                                // 000000008660: 69E3E081
	v_add_u32_e32 v242, 2, v240                                // 000000008664: 69E5E082
	v_add_u32_e32 v243, 3, v240                                // 000000008668: 69E7E083
	v_mov_b32_e32 v41, 0xff800000                              // 00000000866C: 7E5202FF FF800000
	v_cmp_lt_u32_e64 s[40:41], v240, v42                       // 000000008674: D0C90028 000255F0
	v_add_u32_e32 v240, 64, v240                               // 00000000867C: 69E1E0C0
	s_nop 0                                                    // 000000008680: BF800000
	v_cndmask_b32_e64 v128, v41, v128, s[40:41]                // 000000008684: D1000080 00A30129
	v_cmp_lt_u32_e64 s[40:41], v241, v42                       // 00000000868C: D0C90028 000255F1
	v_add_u32_e32 v241, 64, v241                               // 000000008694: 69E3E2C0
	s_nop 0                                                    // 000000008698: BF800000
	v_cndmask_b32_e64 v129, v41, v129, s[40:41]                // 00000000869C: D1000081 00A30329
	v_cmp_lt_u32_e64 s[40:41], v242, v42                       // 0000000086A4: D0C90028 000255F2
	v_add_u32_e32 v242, 64, v242                               // 0000000086AC: 69E5E4C0
	s_nop 0                                                    // 0000000086B0: BF800000
	v_cndmask_b32_e64 v130, v41, v130, s[40:41]                // 0000000086B4: D1000082 00A30529
	v_cmp_lt_u32_e64 s[40:41], v243, v42                       // 0000000086BC: D0C90028 000255F3
	v_add_u32_e32 v243, 64, v243                               // 0000000086C4: 69E7E6C0
	s_nop 0                                                    // 0000000086C8: BF800000
	v_cndmask_b32_e64 v131, v41, v131, s[40:41]                // 0000000086CC: D1000083 00A30729
	v_cmp_lt_u32_e64 s[40:41], v240, v42                       // 0000000086D4: D0C90028 000255F0
	v_add_u32_e32 v240, 64, v240                               // 0000000086DC: 69E1E0C0
	s_nop 0                                                    // 0000000086E0: BF800000
	v_cndmask_b32_e64 v132, v41, v132, s[40:41]                // 0000000086E4: D1000084 00A30929
	v_cmp_lt_u32_e64 s[40:41], v241, v42                       // 0000000086EC: D0C90028 000255F1
	v_add_u32_e32 v241, 64, v241                               // 0000000086F4: 69E3E2C0
	s_nop 0                                                    // 0000000086F8: BF800000
	v_cndmask_b32_e64 v133, v41, v133, s[40:41]                // 0000000086FC: D1000085 00A30B29
	v_cmp_lt_u32_e64 s[40:41], v242, v42                       // 000000008704: D0C90028 000255F2
	v_add_u32_e32 v242, 64, v242                               // 00000000870C: 69E5E4C0
	s_nop 0                                                    // 000000008710: BF800000
	v_cndmask_b32_e64 v134, v41, v134, s[40:41]                // 000000008714: D1000086 00A30D29
	v_cmp_lt_u32_e64 s[40:41], v243, v42                       // 00000000871C: D0C90028 000255F3
	v_add_u32_e32 v243, 64, v243                               // 000000008724: 69E7E6C0
	s_nop 0                                                    // 000000008728: BF800000
	v_cndmask_b32_e64 v135, v41, v135, s[40:41]                // 00000000872C: D1000087 00A30F29
	v_cmp_lt_u32_e64 s[40:41], v240, v42                       // 000000008734: D0C90028 000255F0
	v_add_u32_e32 v240, 64, v240                               // 00000000873C: 69E1E0C0
	s_nop 0                                                    // 000000008740: BF800000
	v_cndmask_b32_e64 v136, v41, v136, s[40:41]                // 000000008744: D1000088 00A31129
	v_cmp_lt_u32_e64 s[40:41], v241, v42                       // 00000000874C: D0C90028 000255F1
	v_add_u32_e32 v241, 64, v241                               // 000000008754: 69E3E2C0
	s_nop 0                                                    // 000000008758: BF800000
	v_cndmask_b32_e64 v137, v41, v137, s[40:41]                // 00000000875C: D1000089 00A31329
	v_cmp_lt_u32_e64 s[40:41], v242, v42                       // 000000008764: D0C90028 000255F2
	v_add_u32_e32 v242, 64, v242                               // 00000000876C: 69E5E4C0
	s_nop 0                                                    // 000000008770: BF800000
	v_cndmask_b32_e64 v138, v41, v138, s[40:41]                // 000000008774: D100008A 00A31529
	v_cmp_lt_u32_e64 s[40:41], v243, v42                       // 00000000877C: D0C90028 000255F3
	v_add_u32_e32 v243, 64, v243                               // 000000008784: 69E7E6C0
	s_nop 0                                                    // 000000008788: BF800000
	v_cndmask_b32_e64 v139, v41, v139, s[40:41]                // 00000000878C: D100008B 00A31729
	v_cmp_lt_u32_e64 s[40:41], v240, v42                       // 000000008794: D0C90028 000255F0
	v_add_u32_e32 v240, 64, v240                               // 00000000879C: 69E1E0C0
	s_nop 0                                                    // 0000000087A0: BF800000
	v_cndmask_b32_e64 v140, v41, v140, s[40:41]                // 0000000087A4: D100008C 00A31929
	v_cmp_lt_u32_e64 s[40:41], v241, v42                       // 0000000087AC: D0C90028 000255F1
	v_add_u32_e32 v241, 64, v241                               // 0000000087B4: 69E3E2C0
	s_nop 0                                                    // 0000000087B8: BF800000
	v_cndmask_b32_e64 v141, v41, v141, s[40:41]                // 0000000087BC: D100008D 00A31B29
	v_cmp_lt_u32_e64 s[40:41], v242, v42                       // 0000000087C4: D0C90028 000255F2
	v_add_u32_e32 v242, 64, v242                               // 0000000087CC: 69E5E4C0
	s_nop 0                                                    // 0000000087D0: BF800000
	v_cndmask_b32_e64 v142, v41, v142, s[40:41]                // 0000000087D4: D100008E 00A31D29
	v_cmp_lt_u32_e64 s[40:41], v243, v42                       // 0000000087DC: D0C90028 000255F3
	v_add_u32_e32 v243, 64, v243                               // 0000000087E4: 69E7E6C0
	s_nop 0                                                    // 0000000087E8: BF800000
	v_cndmask_b32_e64 v143, v41, v143, s[40:41]                // 0000000087EC: D100008F 00A31F29
	v_mov_b32_e32 v62, v128                                    // 0000000087F4: 7E7C0380
	v_max3_f32 v62, v128, v129, v62                            // 0000000087F8: D1D3003E 04FB0380
	v_max3_f32 v62, v130, v131, v62                            // 000000008800: D1D3003E 04FB0782
	v_max3_f32 v62, v132, v133, v62                            // 000000008808: D1D3003E 04FB0B84
	v_max3_f32 v62, v134, v135, v62                            // 000000008810: D1D3003E 04FB0F86
	v_max3_f32 v62, v136, v137, v62                            // 000000008818: D1D3003E 04FB1388
	v_max3_f32 v62, v138, v139, v62                            // 000000008820: D1D3003E 04FB178A
	v_max3_f32 v62, v140, v141, v62                            // 000000008828: D1D3003E 04FB1B8C
	v_max3_f32 v62, v142, v143, v62                            // 000000008830: D1D3003E 04FB1F8E
	ds_write_b32 v11, v62 offset:16896                         // 000000008838: D81A4200 00003E0B
	v_mul_u32_u24_dpp v41, v20, v68 row_newbcast:1 row_mask:0xf bank_mask:0xf// 000000008840: 105288FA FF015114
	v_mul_u32_u24_dpp v42, v20, v68 row_newbcast:5 row_mask:0xf bank_mask:0xf// 000000008848: 105488FA FF015514
	v_mul_u32_u24_dpp v43, v20, v68 row_newbcast:9 row_mask:0xf bank_mask:0xf// 000000008850: 105688FA FF015914
	v_mul_u32_u24_dpp v44, v20, v68 row_newbcast:13 row_mask:0xf bank_mask:0xf// 000000008858: 105888FA FF015D14
	v_add_u32_e32 v37, v41, v7                                 // 000000008860: 684A0F29
	v_add_u32_e32 v38, v42, v7                                 // 000000008864: 684C0F2A
	v_add_u32_e32 v39, v43, v7                                 // 000000008868: 684E0F2B
	v_add_u32_e32 v40, v44, v7                                 // 00000000886C: 68500F2C
	v_mul_f32_e32 v224, v63, v224                              // 000000008870: 0BC1C13F
	v_mul_f32_e32 v225, v63, v225                              // 000000008874: 0BC3C33F
	v_mul_f32_e32 v226, v63, v226                              // 000000008878: 0BC5C53F
	v_mul_f32_e32 v227, v63, v227                              // 00000000887C: 0BC7C73F
	v_mul_f32_e32 v228, v63, v228                              // 000000008880: 0BC9C93F
	v_mul_f32_e32 v229, v63, v229                              // 000000008884: 0BCBCB3F
	v_mul_f32_e32 v230, v63, v230                              // 000000008888: 0BCDCD3F
	v_mul_f32_e32 v231, v63, v231                              // 00000000888C: 0BCFCF3F
	s_waitcnt lgkmcnt(0)                                       // 000000008890: BF8CC07F
	s_barrier                                                  // 000000008894: BF8A0000
	ds_read_b32 v80, v10 offset:16896                          // 000000008898: D86C4200 5000000A
	ds_read_b32 v81, v10 offset:16960                          // 0000000088A0: D86C4240 5100000A
	ds_read_b32 v82, v10 offset:17024                          // 0000000088A8: D86C4280 5200000A
	ds_read_b32 v83, v10 offset:17088                          // 0000000088B0: D86C42C0 5300000A
	ds_read_b32 v84, v10 offset:17152                          // 0000000088B8: D86C4300 5400000A
	ds_read_b32 v85, v10 offset:17216                          // 0000000088C0: D86C4340 5500000A
	ds_read_b32 v86, v10 offset:17280                          // 0000000088C8: D86C4380 5600000A
	ds_read_b32 v87, v10 offset:17344                          // 0000000088D0: D86C43C0 5700000A
	ds_read_b32 v88, v10 offset:17408                          // 0000000088D8: D86C4400 5800000A
	ds_read_b32 v89, v10 offset:17472                          // 0000000088E0: D86C4440 5900000A
	ds_read_b32 v90, v10 offset:17536                          // 0000000088E8: D86C4480 5A00000A
	ds_read_b32 v91, v10 offset:17600                          // 0000000088F0: D86C44C0 5B00000A
	ds_read_b32 v92, v10 offset:17664                          // 0000000088F8: D86C4500 5C00000A
	ds_read_b32 v93, v10 offset:17728                          // 000000008900: D86C4540 5D00000A
	ds_read_b32 v94, v10 offset:17792                          // 000000008908: D86C4580 5E00000A
	ds_read_b32 v95, v10 offset:17856                          // 000000008910: D86C45C0 5F00000A
	v_mul_f32_e32 v192, v58, v192                              // 000000008918: 0B81813A
	v_mul_f32_e32 v193, v58, v193                              // 00000000891C: 0B83833A
	v_mul_f32_e32 v194, v58, v194                              // 000000008920: 0B85853A
	v_mul_f32_e32 v195, v58, v195                              // 000000008924: 0B87873A
	v_mul_f32_e32 v196, v58, v196                              // 000000008928: 0B89893A
	v_mul_f32_e32 v197, v58, v197                              // 00000000892C: 0B8B8B3A
	v_mul_f32_e32 v198, v58, v198                              // 000000008930: 0B8D8D3A
	v_mul_f32_e32 v199, v58, v199                              // 000000008934: 0B8F8F3A
	s_waitcnt lgkmcnt(0)                                       // 000000008938: BF8CC07F
	v_max3_f32 v62, v80, v81, v62                              // 00000000893C: D1D3003E 04FAA350
	v_max3_f32 v62, v82, v83, v62                              // 000000008944: D1D3003E 04FAA752
	v_max3_f32 v62, v84, v85, v62                              // 00000000894C: D1D3003E 04FAAB54
	v_max3_f32 v62, v86, v87, v62                              // 000000008954: D1D3003E 04FAAF56
	v_max3_f32 v62, v88, v89, v62                              // 00000000895C: D1D3003E 04FAB358
	v_max3_f32 v62, v90, v91, v62                              // 000000008964: D1D3003E 04FAB75A
	v_max3_f32 v62, v92, v93, v62                              // 00000000896C: D1D3003E 04FABB5C
	v_max3_f32 v62, v94, v95, v62                              // 000000008974: D1D3003E 04FABF5E
	v_mov_b32_e32 v41, 0xff800000                              // 00000000897C: 7E5202FF FF800000
	v_cmp_eq_u32_e64 s[40:41], v41, v14                        // 000000008984: D0CA0028 00021D29
	s_nop 1                                                    // 00000000898C: BF800001
	v_max_f32_e32 v18, v62, v14                                // 000000008990: 16241D3E
	v_mul_f32_e32 v67, s64, v18                                // 000000008994: 0A862440
	v_fma_f32 v128, v128, s64, -v67                            // 000000008998: D1CB0080 850C8180
	v_fma_f32 v129, v129, s64, -v67                            // 0000000089A0: D1CB0081 850C8181
	v_fma_f32 v130, v130, s64, -v67                            // 0000000089A8: D1CB0082 850C8182
	v_fma_f32 v131, v131, s64, -v67                            // 0000000089B0: D1CB0083 850C8183
	v_fma_f32 v132, v132, s64, -v67                            // 0000000089B8: D1CB0084 850C8184
	v_fma_f32 v133, v133, s64, -v67                            // 0000000089C0: D1CB0085 850C8185
	v_fma_f32 v134, v134, s64, -v67                            // 0000000089C8: D1CB0086 850C8186
	v_fma_f32 v135, v135, s64, -v67                            // 0000000089D0: D1CB0087 850C8187
	v_fma_f32 v136, v136, s64, -v67                            // 0000000089D8: D1CB0088 850C8188
	v_fma_f32 v137, v137, s64, -v67                            // 0000000089E0: D1CB0089 850C8189
	v_fma_f32 v138, v138, s64, -v67                            // 0000000089E8: D1CB008A 850C818A
	v_fma_f32 v139, v139, s64, -v67                            // 0000000089F0: D1CB008B 850C818B
	v_fma_f32 v140, v140, s64, -v67                            // 0000000089F8: D1CB008C 850C818C
	v_fma_f32 v141, v141, s64, -v67                            // 000000008A00: D1CB008D 850C818D
	v_fma_f32 v142, v142, s64, -v67                            // 000000008A08: D1CB008E 850C818E
	v_fma_f32 v143, v143, s64, -v67                            // 000000008A10: D1CB008F 850C818F
	v_exp_f32_e32 v128, v128                                   // 000000008A18: 7F004180
	v_exp_f32_e32 v129, v129                                   // 000000008A1C: 7F024181
	v_exp_f32_e32 v130, v130                                   // 000000008A20: 7F044182
	v_exp_f32_e32 v131, v131                                   // 000000008A24: 7F064183
	v_exp_f32_e32 v132, v132                                   // 000000008A28: 7F084184
	v_exp_f32_e32 v133, v133                                   // 000000008A2C: 7F0A4185
	v_exp_f32_e32 v134, v134                                   // 000000008A30: 7F0C4186
	v_exp_f32_e32 v135, v135                                   // 000000008A34: 7F0E4187
	v_exp_f32_e32 v136, v136                                   // 000000008A38: 7F104188
	v_exp_f32_e32 v137, v137                                   // 000000008A3C: 7F124189
	v_exp_f32_e32 v138, v138                                   // 000000008A40: 7F14418A
	v_exp_f32_e32 v139, v139                                   // 000000008A44: 7F16418B
	v_exp_f32_e32 v140, v140                                   // 000000008A48: 7F18418C
	v_exp_f32_e32 v141, v141                                   // 000000008A4C: 7F1A418D
	v_exp_f32_e32 v142, v142                                   // 000000008A50: 7F1C418E
	v_exp_f32_e32 v143, v143                                   // 000000008A54: 7F1E418F
	v_mul_f32_dpp v240, v252, v128 quad_perm:[0,0,0,0] row_mask:0xf bank_mask:0xf// 000000008A58: 0BE100FA FF0000FC
	v_mul_f32_dpp v241, v252, v129 quad_perm:[1,1,1,1] row_mask:0xf bank_mask:0xf// 000000008A60: 0BE302FA FF0055FC
	v_mul_f32_dpp v242, v252, v130 quad_perm:[2,2,2,2] row_mask:0xf bank_mask:0xf// 000000008A68: 0BE504FA FF00AAFC
	v_mul_f32_dpp v243, v252, v131 quad_perm:[3,3,3,3] row_mask:0xf bank_mask:0xf// 000000008A70: 0BE706FA FF00FFFC
	v_mul_f32_dpp v244, v253, v132 quad_perm:[0,0,0,0] row_mask:0xf bank_mask:0xf// 000000008A78: 0BE908FA FF0000FD
	v_mul_f32_dpp v245, v253, v133 quad_perm:[1,1,1,1] row_mask:0xf bank_mask:0xf// 000000008A80: 0BEB0AFA FF0055FD
	v_mul_f32_dpp v246, v253, v134 quad_perm:[2,2,2,2] row_mask:0xf bank_mask:0xf// 000000008A88: 0BED0CFA FF00AAFD
	v_mul_f32_dpp v247, v253, v135 quad_perm:[3,3,3,3] row_mask:0xf bank_mask:0xf// 000000008A90: 0BEF0EFA FF00FFFD
	v_mul_f32_dpp v248, v254, v136 quad_perm:[0,0,0,0] row_mask:0xf bank_mask:0xf// 000000008A98: 0BF110FA FF0000FE
	v_mul_f32_dpp v249, v254, v137 quad_perm:[1,1,1,1] row_mask:0xf bank_mask:0xf// 000000008AA0: 0BF312FA FF0055FE
	v_mul_f32_dpp v250, v254, v138 quad_perm:[2,2,2,2] row_mask:0xf bank_mask:0xf// 000000008AA8: 0BF514FA FF00AAFE
	v_mul_f32_dpp v251, v254, v139 quad_perm:[3,3,3,3] row_mask:0xf bank_mask:0xf// 000000008AB0: 0BF716FA FF00FFFE
	v_mul_f32_dpp v252, v255, v140 quad_perm:[0,0,0,0] row_mask:0xf bank_mask:0xf// 000000008AB8: 0BF918FA FF0000FF
	v_mul_f32_dpp v253, v255, v141 quad_perm:[1,1,1,1] row_mask:0xf bank_mask:0xf// 000000008AC0: 0BFB1AFA FF0055FF
	v_mul_f32_dpp v254, v255, v142 quad_perm:[2,2,2,2] row_mask:0xf bank_mask:0xf// 000000008AC8: 0BFD1CFA FF00AAFF
	v_mul_f32_dpp v255, v255, v143 quad_perm:[3,3,3,3] row_mask:0xf bank_mask:0xf// 000000008AD0: 0BFF1EFA FF00FFFF
	v_mov_b32_e32 v62, 0x358637bd                              // 000000008AD8: 7E7C02FF 358637BD
	v_max3_f32 v62, |v240|, |v241|, v62                        // 000000008AE0: D1D3033E 04FBE3F0
	v_max3_f32 v62, |v242|, |v243|, v62                        // 000000008AE8: D1D3033E 04FBE7F2
	v_max3_f32 v62, |v244|, |v245|, v62                        // 000000008AF0: D1D3033E 04FBEBF4
	v_max3_f32 v62, |v246|, |v247|, v62                        // 000000008AF8: D1D3033E 04FBEFF6
	v_max3_f32 v62, |v248|, |v249|, v62                        // 000000008B00: D1D3033E 04FBF3F8
	v_max3_f32 v62, |v250|, |v251|, v62                        // 000000008B08: D1D3033E 04FBF7FA
	v_max3_f32 v62, |v252|, |v253|, v62                        // 000000008B10: D1D3033E 04FBFBFC
	v_max3_f32 v62, |v254|, |v255|, v62                        // 000000008B18: D1D3033E 04FBFFFE
	ds_write_b32 v11, v62 offset:20992                         // 000000008B20: D81A5200 00003E0B
	v_sub_f32_e32 v63, v14, v18                                // 000000008B28: 047E250E
	v_cndmask_b32_e64 v63, v63, 0, s[40:41]                    // 000000008B2C: D100003F 00A1013F
	v_mov_b32_e32 v14, v18                                     // 000000008B34: 7E1C0312
	v_mul_f32_e32 v63, s64, v63                                // 000000008B38: 0A7E7E40
	v_exp_f32_e32 v63, v63                                     // 000000008B3C: 7E7E413F
	s_waitcnt lgkmcnt(0)                                       // 000000008B40: BF8CC07F
	s_barrier                                                  // 000000008B44: BF8A0000
	ds_read_b32 v80, v10 offset:20992                          // 000000008B48: D86C5200 5000000A
	ds_read_b32 v81, v10 offset:21056                          // 000000008B50: D86C5240 5100000A
	ds_read_b32 v82, v10 offset:21120                          // 000000008B58: D86C5280 5200000A
	ds_read_b32 v83, v10 offset:21184                          // 000000008B60: D86C52C0 5300000A
	ds_read_b32 v84, v10 offset:21248                          // 000000008B68: D86C5300 5400000A
	ds_read_b32 v85, v10 offset:21312                          // 000000008B70: D86C5340 5500000A
	ds_read_b32 v86, v10 offset:21376                          // 000000008B78: D86C5380 5600000A
	ds_read_b32 v87, v10 offset:21440                          // 000000008B80: D86C53C0 5700000A
	ds_read_b32 v88, v10 offset:21504                          // 000000008B88: D86C5400 5800000A
	ds_read_b32 v89, v10 offset:21568                          // 000000008B90: D86C5440 5900000A
	ds_read_b32 v90, v10 offset:21632                          // 000000008B98: D86C5480 5A00000A
	ds_read_b32 v91, v10 offset:21696                          // 000000008BA0: D86C54C0 5B00000A
	ds_read_b32 v92, v10 offset:21760                          // 000000008BA8: D86C5500 5C00000A
	ds_read_b32 v93, v10 offset:21824                          // 000000008BB0: D86C5540 5D00000A
	ds_read_b32 v94, v10 offset:21888                          // 000000008BB8: D86C5580 5E00000A
	ds_read_b32 v95, v10 offset:21952                          // 000000008BC0: D86C55C0 5F00000A
	v_mul_f32_e32 v47, v63, v47                                // 000000008BC8: 0A5E5F3F
	v_mov_b32_e32 v18, v128                                    // 000000008BCC: 7E240380
	v_add_f32_e32 v18, v129, v18                               // 000000008BD0: 02242581
	v_add_f32_e32 v18, v130, v18                               // 000000008BD4: 02242582
	v_add_f32_e32 v18, v131, v18                               // 000000008BD8: 02242583
	v_add_f32_e32 v18, v132, v18                               // 000000008BDC: 02242584
	v_add_f32_e32 v18, v133, v18                               // 000000008BE0: 02242585
	v_add_f32_e32 v18, v134, v18                               // 000000008BE4: 02242586
	v_add_f32_e32 v18, v135, v18                               // 000000008BE8: 02242587
	v_add_f32_e32 v18, v136, v18                               // 000000008BEC: 02242588
	v_add_f32_e32 v18, v137, v18                               // 000000008BF0: 02242589
	v_add_f32_e32 v18, v138, v18                               // 000000008BF4: 0224258A
	v_add_f32_e32 v18, v139, v18                               // 000000008BF8: 0224258B
	v_add_f32_e32 v18, v140, v18                               // 000000008BFC: 0224258C
	v_add_f32_e32 v18, v141, v18                               // 000000008C00: 0224258D
	v_add_f32_e32 v18, v142, v18                               // 000000008C04: 0224258E
	v_add_f32_e32 v18, v143, v18                               // 000000008C08: 0224258F
	v_add_f32_e32 v47, v18, v47                                // 000000008C0C: 025E5F12
	s_waitcnt lgkmcnt(0)                                       // 000000008C10: BF8CC07F
	v_max3_f32 v62, |v80|, |v81|, v62                          // 000000008C14: D1D3033E 04FAA350
	v_max3_f32 v62, |v82|, |v83|, v62                          // 000000008C1C: D1D3033E 04FAA752
	v_max3_f32 v62, |v84|, |v85|, v62                          // 000000008C24: D1D3033E 04FAAB54
	v_max3_f32 v62, |v86|, |v87|, v62                          // 000000008C2C: D1D3033E 04FAAF56
	v_max3_f32 v62, |v88|, |v89|, v62                          // 000000008C34: D1D3033E 04FAB358
	v_max3_f32 v62, |v90|, |v91|, v62                          // 000000008C3C: D1D3033E 04FAB75A
	v_max3_f32 v62, |v92|, |v93|, v62                          // 000000008C44: D1D3033E 04FABB5C
	v_max3_f32 v62, |v94|, |v95|, v62                          // 000000008C4C: D1D3033E 04FABF5E
	s_nop 2                                                    // 000000008C54: BF800002
	v_rcp_f32_e32 v62, v62                                     // 000000008C58: 7E7C453E
	s_nop 1                                                    // 000000008C5C: BF800001
	v_mul_f32_e32 v62, 0x43700000, v62                         // 000000008C60: 0A7C7CFF 43700000
	v_mul_f32_e32 v128, v62, v240                              // 000000008C68: 0B01E13E
	v_mul_f32_e32 v129, v62, v241                              // 000000008C6C: 0B03E33E
	v_mul_f32_e32 v130, v62, v242                              // 000000008C70: 0B05E53E
	v_mul_f32_e32 v131, v62, v243                              // 000000008C74: 0B07E73E
	v_mul_f32_e32 v132, v62, v244                              // 000000008C78: 0B09E93E
	v_mul_f32_e32 v133, v62, v245                              // 000000008C7C: 0B0BEB3E
	v_mul_f32_e32 v134, v62, v246                              // 000000008C80: 0B0DED3E
	v_mul_f32_e32 v135, v62, v247                              // 000000008C84: 0B0FEF3E
	v_mul_f32_e32 v136, v62, v248                              // 000000008C88: 0B11F13E
	v_mul_f32_e32 v137, v62, v249                              // 000000008C8C: 0B13F33E
	v_mul_f32_e32 v138, v62, v250                              // 000000008C90: 0B15F53E
	v_mul_f32_e32 v139, v62, v251                              // 000000008C94: 0B17F73E
	v_mul_f32_e32 v140, v62, v252                              // 000000008C98: 0B19F93E
	v_mul_f32_e32 v141, v62, v253                              // 000000008C9C: 0B1BFB3E
	v_mul_f32_e32 v142, v62, v254                              // 000000008CA0: 0B1DFD3E
	v_mul_f32_e32 v143, v62, v255                              // 000000008CA4: 0B1FFF3E
	v_cvt_pk_fp8_f32 v128, v128, v129                          // 000000008CA8: D2A20080 00030380
	v_cvt_pk_fp8_f32 v128, v130, v131 op_sel:[0,0,1]           // 000000008CB0: D2A24080 00030782
	v_cvt_pk_fp8_f32 v129, v132, v133                          // 000000008CB8: D2A20081 00030B84
	v_cvt_pk_fp8_f32 v129, v134, v135 op_sel:[0,0,1]           // 000000008CC0: D2A24081 00030F86
	v_cvt_pk_fp8_f32 v130, v136, v137                          // 000000008CC8: D2A20082 00031388
	v_cvt_pk_fp8_f32 v130, v138, v139 op_sel:[0,0,1]           // 000000008CD0: D2A24082 0003178A
	v_cvt_pk_fp8_f32 v131, v140, v141                          // 000000008CD8: D2A20083 00031B8C
	v_cvt_pk_fp8_f32 v131, v142, v143 op_sel:[0,0,1]           // 000000008CE0: D2A24083 00031F8E
	ds_write_b32 v13, v128 offset:25088                        // 000000008CE8: D81A6200 0000800D
	ds_write_b32 v13, v129 offset:26112                        // 000000008CF0: D81A6600 0000810D
	ds_write_b32 v13, v130 offset:27136                        // 000000008CF8: D81A6A00 0000820D
	ds_write_b32 v13, v131 offset:28160                        // 000000008D00: D81A6E00 0000830D
	v_add_f32_e32 v224, v224, v192                             // 000000008D08: 03C181E0
	v_add_f32_e32 v225, v225, v193                             // 000000008D0C: 03C383E1
	v_add_f32_e32 v226, v226, v194                             // 000000008D10: 03C585E2
	v_add_f32_e32 v227, v227, v195                             // 000000008D14: 03C787E3
	v_add_f32_e32 v228, v228, v196                             // 000000008D18: 03C989E4
	v_add_f32_e32 v229, v229, v197                             // 000000008D1C: 03CB8BE5
	v_add_f32_e32 v230, v230, v198                             // 000000008D20: 03CD8DE6
	v_add_f32_e32 v231, v231, v199                             // 000000008D24: 03CF8FE7
	v_rcp_f32_e32 v58, v62                                     // 000000008D28: 7E74453E
	s_waitcnt lgkmcnt(0)                                       // 000000008D2C: BF8CC07F
	s_barrier                                                  // 000000008D30: BF8A0000
	ds_read_b64 v[128:129], v12 offset:25088                   // 000000008D34: D8EC6200 8000000C
	ds_read_b64 v[130:131], v12 offset:25216                   // 000000008D3C: D8EC6280 8200000C
	ds_read_b64 v[132:133], v12 offset:26112                   // 000000008D44: D8EC6600 8400000C
	ds_read_b64 v[134:135], v12 offset:26240                   // 000000008D4C: D8EC6680 8600000C
	ds_read_b64 v[136:137], v12 offset:27136                   // 000000008D54: D8EC6A00 8800000C
	ds_read_b64 v[138:139], v12 offset:27264                   // 000000008D5C: D8EC6A80 8A00000C
	ds_read_b64 v[140:141], v12 offset:28160                   // 000000008D64: D8EC6E00 8C00000C
	ds_read_b64 v[142:143], v12 offset:28288                   // 000000008D6C: D8EC6E80 8E00000C
	s_waitcnt vmcnt(0)                                         // 000000008D74: BF8C0F70
	s_barrier                                                  // 000000008D78: BF8A0000
	s_waitcnt lgkmcnt(7)                                       // 000000008D7C: BF8CC77F
	v_mfma_f32_16x16x32_fp8_fp8 v[192:195], a[64:65], v[128:129], 0// 000000008D80: D3F300C0 0A030140
	s_waitcnt lgkmcnt(6)                                       // 000000008D88: BF8CC67F
	v_mfma_f32_16x16x32_fp8_fp8 v[192:195], a[66:67], v[130:131], v[192:195]// 000000008D8C: D3F300C0 0F030542
	s_waitcnt lgkmcnt(5)                                       // 000000008D94: BF8CC57F
	v_mfma_f32_16x16x32_fp8_fp8 v[192:195], a[68:69], v[132:133], v[192:195]// 000000008D98: D3F300C0 0F030944
	s_waitcnt lgkmcnt(4)                                       // 000000008DA0: BF8CC47F
	v_mfma_f32_16x16x32_fp8_fp8 v[192:195], a[70:71], v[134:135], v[192:195]// 000000008DA4: D3F300C0 0F030D46
	s_waitcnt lgkmcnt(3)                                       // 000000008DAC: BF8CC37F
	v_mfma_f32_16x16x32_fp8_fp8 v[192:195], a[72:73], v[136:137], v[192:195]// 000000008DB0: D3F300C0 0F031148
	s_waitcnt lgkmcnt(2)                                       // 000000008DB8: BF8CC27F
	v_mfma_f32_16x16x32_fp8_fp8 v[192:195], a[74:75], v[138:139], v[192:195]// 000000008DBC: D3F300C0 0F03154A
	s_waitcnt lgkmcnt(1)                                       // 000000008DC4: BF8CC17F
	v_mfma_f32_16x16x32_fp8_fp8 v[192:195], a[76:77], v[140:141], v[192:195]// 000000008DC8: D3F300C0 0F03194C
	s_waitcnt lgkmcnt(0)                                       // 000000008DD0: BF8CC07F
	v_mfma_f32_16x16x32_fp8_fp8 v[192:195], a[78:79], v[142:143], v[192:195]// 000000008DD4: D3F300C0 0F031D4E
	v_mfma_f32_16x16x32_fp8_fp8 v[196:199], a[80:81], v[128:129], 0// 000000008DDC: D3F300C4 0A030150
	v_mfma_f32_16x16x32_fp8_fp8 v[196:199], a[82:83], v[130:131], v[196:199]// 000000008DE4: D3F300C4 0F130552
	v_mfma_f32_16x16x32_fp8_fp8 v[196:199], a[84:85], v[132:133], v[196:199]// 000000008DEC: D3F300C4 0F130954
	v_mfma_f32_16x16x32_fp8_fp8 v[196:199], a[86:87], v[134:135], v[196:199]// 000000008DF4: D3F300C4 0F130D56
	v_mfma_f32_16x16x32_fp8_fp8 v[196:199], a[88:89], v[136:137], v[196:199]// 000000008DFC: D3F300C4 0F131158
	v_mfma_f32_16x16x32_fp8_fp8 v[196:199], a[90:91], v[138:139], v[196:199]// 000000008E04: D3F300C4 0F13155A
	v_mfma_f32_16x16x32_fp8_fp8 v[196:199], a[92:93], v[140:141], v[196:199]// 000000008E0C: D3F300C4 0F13195C
	v_mfma_f32_16x16x32_fp8_fp8 v[196:199], a[94:95], v[142:143], v[196:199]// 000000008E14: D3F300C4 0F131D5E
	s_nop 4                                                    // 000000008E1C: BF800004
	s_branch label_1D87                                        // 000000008E20: BF82027E

0000000000008e24 <label_1B09>:
	s_waitcnt vmcnt(8) lgkmcnt(0)                              // 000000008E24: BF8C0078
	s_barrier                                                  // 000000008E28: BF8A0000
	v_mfma_f32_16x16x32_fp8_fp8 v[128:131], a[32:33], v[96:97], 0// 000000008E2C: D3F30080 0A02C120
	v_mfma_f32_16x16x32_fp8_fp8 v[128:131], a[34:35], v[98:99], v[128:131]// 000000008E34: D3F30080 0E02C522
	v_mfma_f32_16x16x32_fp8_fp8 v[128:131], a[36:37], v[100:101], v[128:131]// 000000008E3C: D3F30080 0E02C924
	v_mfma_f32_16x16x32_fp8_fp8 v[128:131], a[38:39], v[102:103], v[128:131]// 000000008E44: D3F30080 0E02CD26
	v_mfma_f32_16x16x32_fp8_fp8 v[132:135], a[40:41], v[96:97], 0// 000000008E4C: D3F30084 0A02C128
	v_mfma_f32_16x16x32_fp8_fp8 v[132:135], a[42:43], v[98:99], v[132:135]// 000000008E54: D3F30084 0E12C52A
	v_mfma_f32_16x16x32_fp8_fp8 v[132:135], a[44:45], v[100:101], v[132:135]// 000000008E5C: D3F30084 0E12C92C
	v_mfma_f32_16x16x32_fp8_fp8 v[132:135], a[46:47], v[102:103], v[132:135]// 000000008E64: D3F30084 0E12CD2E
	v_mfma_f32_16x16x32_fp8_fp8 v[136:139], a[48:49], v[96:97], 0// 000000008E6C: D3F30088 0A02C130
	v_mfma_f32_16x16x32_fp8_fp8 v[136:139], a[50:51], v[98:99], v[136:139]// 000000008E74: D3F30088 0E22C532
	v_mfma_f32_16x16x32_fp8_fp8 v[136:139], a[52:53], v[100:101], v[136:139]// 000000008E7C: D3F30088 0E22C934
	v_mfma_f32_16x16x32_fp8_fp8 v[136:139], a[54:55], v[102:103], v[136:139]// 000000008E84: D3F30088 0E22CD36
	v_mfma_f32_16x16x32_fp8_fp8 v[140:143], a[56:57], v[96:97], 0// 000000008E8C: D3F3008C 0A02C138
	v_mfma_f32_16x16x32_fp8_fp8 v[140:143], a[58:59], v[98:99], v[140:143]// 000000008E94: D3F3008C 0E32C53A
	v_mfma_f32_16x16x32_fp8_fp8 v[140:143], a[60:61], v[100:101], v[140:143]// 000000008E9C: D3F3008C 0E32C93C
	v_mfma_f32_16x16x32_fp8_fp8 v[140:143], a[62:63], v[102:103], v[140:143]// 000000008EA4: D3F3008C 0E32CD3E
	v_mov_b32_dpp v41, v53 row_shr:4 row_mask:0xf bank_mask:0xf// 000000008EAC: 7E5202FA FF011435
	v_mov_b32_dpp v42, v53 row_shl:4 row_mask:0xf bank_mask:0xf// 000000008EB4: 7E5402FA FF010435
	v_cndmask_b32_e64 v248, v53, v41, s[44:45]                 // 000000008EBC: D10000F8 00B25335
	v_cndmask_b32_e64 v249, v42, v53, s[44:45]                 // 000000008EC4: D10000F9 00B26B2A
	v_mov_b32_dpp v41, v248 row_shr:8 row_mask:0xf bank_mask:0xf// 000000008ECC: 7E5202FA FF0118F8
	v_mov_b32_dpp v42, v248 row_shl:8 row_mask:0xf bank_mask:0xf// 000000008ED4: 7E5402FA FF0108F8
	v_mov_b32_dpp v43, v249 row_shr:8 row_mask:0xf bank_mask:0xf// 000000008EDC: 7E5602FA FF0118F9
	v_mov_b32_dpp v44, v249 row_shl:8 row_mask:0xf bank_mask:0xf// 000000008EE4: 7E5802FA FF0108F9
	v_mov_b32_e32 v45, v248                                    // 000000008EEC: 7E5A03F8
	v_mov_b32_e32 v46, v249                                    // 000000008EF0: 7E5C03F9
	v_cndmask_b32_e64 v248, v45, v41, s[42:43]                 // 000000008EF4: D10000F8 00AA532D
	v_cndmask_b32_e64 v250, v45, v42, s[78:79]                 // 000000008EFC: D10000FA 013A552D
	v_cndmask_b32_e64 v249, v46, v43, s[42:43]                 // 000000008F04: D10000F9 00AA572E
	v_cndmask_b32_e64 v251, v46, v44, s[78:79]                 // 000000008F0C: D10000FB 013A592E
	v_mov_b32_dpp v41, v73 row_shr:4 row_mask:0xf bank_mask:0xf// 000000008F14: 7E5202FA FF011449
	v_mov_b32_dpp v42, v73 row_shl:4 row_mask:0xf bank_mask:0xf// 000000008F1C: 7E5402FA FF010449
	v_cndmask_b32_e64 v252, v73, v41, s[44:45]                 // 000000008F24: D10000FC 00B25349
	v_cndmask_b32_e64 v253, v42, v73, s[44:45]                 // 000000008F2C: D10000FD 00B2932A
	v_mov_b32_dpp v41, v252 row_shr:8 row_mask:0xf bank_mask:0xf// 000000008F34: 7E5202FA FF0118FC
	v_mov_b32_dpp v42, v252 row_shl:8 row_mask:0xf bank_mask:0xf// 000000008F3C: 7E5402FA FF0108FC
	v_mov_b32_dpp v43, v253 row_shr:8 row_mask:0xf bank_mask:0xf// 000000008F44: 7E5602FA FF0118FD
	v_mov_b32_dpp v44, v253 row_shl:8 row_mask:0xf bank_mask:0xf// 000000008F4C: 7E5802FA FF0108FD
	v_mov_b32_e32 v45, v252                                    // 000000008F54: 7E5A03FC
	v_mov_b32_e32 v46, v253                                    // 000000008F58: 7E5C03FD
	v_cndmask_b32_e64 v252, v45, v41, s[42:43]                 // 000000008F5C: D10000FC 00AA532D
	v_cndmask_b32_e64 v254, v45, v42, s[78:79]                 // 000000008F64: D10000FE 013A552D
	v_cndmask_b32_e64 v253, v46, v43, s[42:43]                 // 000000008F6C: D10000FD 00AA572E
	v_cndmask_b32_e64 v255, v46, v44, s[78:79]                 // 000000008F74: D10000FF 013A592E
	v_mul_f32_e32 v128, v54, v128                              // 000000008F7C: 0B010136
	v_mul_f32_e32 v129, v54, v129                              // 000000008F80: 0B030336
	v_mul_f32_e32 v130, v54, v130                              // 000000008F84: 0B050536
	v_mul_f32_e32 v131, v54, v131                              // 000000008F88: 0B070736
	v_mul_f32_e32 v132, v54, v132                              // 000000008F8C: 0B090936
	v_mul_f32_e32 v133, v54, v133                              // 000000008F90: 0B0B0B36
	v_mul_f32_e32 v134, v54, v134                              // 000000008F94: 0B0D0D36
	v_mul_f32_e32 v135, v54, v135                              // 000000008F98: 0B0F0F36
	v_mul_f32_e32 v136, v54, v136                              // 000000008F9C: 0B111136
	v_mul_f32_e32 v137, v54, v137                              // 000000008FA0: 0B131336
	v_mul_f32_e32 v138, v54, v138                              // 000000008FA4: 0B151536
	v_mul_f32_e32 v139, v54, v139                              // 000000008FA8: 0B171736
	v_mul_f32_e32 v140, v54, v140                              // 000000008FAC: 0B191936
	v_mul_f32_e32 v141, v54, v141                              // 000000008FB0: 0B1B1B36
	v_mul_f32_e32 v142, v54, v142                              // 000000008FB4: 0B1D1D36
	v_mul_f32_e32 v143, v54, v143                              // 000000008FB8: 0B1F1F36
	v_mul_f32_dpp v128, v248, v128 quad_perm:[0,0,0,0] row_mask:0xf bank_mask:0xf// 000000008FBC: 0B0100FA FF0000F8
	v_mul_f32_dpp v129, v248, v129 quad_perm:[1,1,1,1] row_mask:0xf bank_mask:0xf// 000000008FC4: 0B0302FA FF0055F8
	v_mul_f32_dpp v130, v248, v130 quad_perm:[2,2,2,2] row_mask:0xf bank_mask:0xf// 000000008FCC: 0B0504FA FF00AAF8
	v_mul_f32_dpp v131, v248, v131 quad_perm:[3,3,3,3] row_mask:0xf bank_mask:0xf// 000000008FD4: 0B0706FA FF00FFF8
	v_mul_f32_dpp v132, v249, v132 quad_perm:[0,0,0,0] row_mask:0xf bank_mask:0xf// 000000008FDC: 0B0908FA FF0000F9
	v_mul_f32_dpp v133, v249, v133 quad_perm:[1,1,1,1] row_mask:0xf bank_mask:0xf// 000000008FE4: 0B0B0AFA FF0055F9
	v_mul_f32_dpp v134, v249, v134 quad_perm:[2,2,2,2] row_mask:0xf bank_mask:0xf// 000000008FEC: 0B0D0CFA FF00AAF9
	v_mul_f32_dpp v135, v249, v135 quad_perm:[3,3,3,3] row_mask:0xf bank_mask:0xf// 000000008FF4: 0B0F0EFA FF00FFF9
	v_mul_f32_dpp v136, v250, v136 quad_perm:[0,0,0,0] row_mask:0xf bank_mask:0xf// 000000008FFC: 0B1110FA FF0000FA
	v_mul_f32_dpp v137, v250, v137 quad_perm:[1,1,1,1] row_mask:0xf bank_mask:0xf// 000000009004: 0B1312FA FF0055FA
	v_mul_f32_dpp v138, v250, v138 quad_perm:[2,2,2,2] row_mask:0xf bank_mask:0xf// 00000000900C: 0B1514FA FF00AAFA
	v_mul_f32_dpp v139, v250, v139 quad_perm:[3,3,3,3] row_mask:0xf bank_mask:0xf// 000000009014: 0B1716FA FF00FFFA
	v_mul_f32_dpp v140, v251, v140 quad_perm:[0,0,0,0] row_mask:0xf bank_mask:0xf// 00000000901C: 0B1918FA FF0000FB
	v_mul_f32_dpp v141, v251, v141 quad_perm:[1,1,1,1] row_mask:0xf bank_mask:0xf// 000000009024: 0B1B1AFA FF0055FB
	v_mul_f32_dpp v142, v251, v142 quad_perm:[2,2,2,2] row_mask:0xf bank_mask:0xf// 00000000902C: 0B1D1CFA FF00AAFB
	v_mul_f32_dpp v143, v251, v143 quad_perm:[3,3,3,3] row_mask:0xf bank_mask:0xf// 000000009034: 0B1F1EFA FF00FFFB
	s_and_b32 s60, s72, 0xff                                   // 00000000903C: 863CFF48 000000FF
	v_mov_b32_e32 v42, s60                                     // 000000009044: 7E54023C
	v_lshrrev_b32_e32 v240, 4, v0                              // 000000009048: 21E00084
	v_mul_i32_i24_e32 v240, 4, v240                            // 00000000904C: 0DE1E084
	s_mul_i32 s60, s7, 16                                      // 000000009050: 923C9007
	v_add_u32_e32 v240, s60, v240                              // 000000009054: 69E1E03C
	v_add_u32_e32 v241, 1, v240                                // 000000009058: 69E3E081
	v_add_u32_e32 v242, 2, v240                                // 00000000905C: 69E5E082
	v_add_u32_e32 v243, 3, v240                                // 000000009060: 69E7E083
	v_mov_b32_e32 v41, 0xff800000                              // 000000009064: 7E5202FF FF800000
	v_cmp_lt_u32_e64 s[40:41], v240, v42                       // 00000000906C: D0C90028 000255F0
	v_add_u32_e32 v240, 64, v240                               // 000000009074: 69E1E0C0
	s_nop 0                                                    // 000000009078: BF800000
	v_cndmask_b32_e64 v128, v41, v128, s[40:41]                // 00000000907C: D1000080 00A30129
	v_cmp_lt_u32_e64 s[40:41], v241, v42                       // 000000009084: D0C90028 000255F1
	v_add_u32_e32 v241, 64, v241                               // 00000000908C: 69E3E2C0
	s_nop 0                                                    // 000000009090: BF800000
	v_cndmask_b32_e64 v129, v41, v129, s[40:41]                // 000000009094: D1000081 00A30329
	v_cmp_lt_u32_e64 s[40:41], v242, v42                       // 00000000909C: D0C90028 000255F2
	v_add_u32_e32 v242, 64, v242                               // 0000000090A4: 69E5E4C0
	s_nop 0                                                    // 0000000090A8: BF800000
	v_cndmask_b32_e64 v130, v41, v130, s[40:41]                // 0000000090AC: D1000082 00A30529
	v_cmp_lt_u32_e64 s[40:41], v243, v42                       // 0000000090B4: D0C90028 000255F3
	v_add_u32_e32 v243, 64, v243                               // 0000000090BC: 69E7E6C0
	s_nop 0                                                    // 0000000090C0: BF800000
	v_cndmask_b32_e64 v131, v41, v131, s[40:41]                // 0000000090C4: D1000083 00A30729
	v_cmp_lt_u32_e64 s[40:41], v240, v42                       // 0000000090CC: D0C90028 000255F0
	v_add_u32_e32 v240, 64, v240                               // 0000000090D4: 69E1E0C0
	s_nop 0                                                    // 0000000090D8: BF800000
	v_cndmask_b32_e64 v132, v41, v132, s[40:41]                // 0000000090DC: D1000084 00A30929
	v_cmp_lt_u32_e64 s[40:41], v241, v42                       // 0000000090E4: D0C90028 000255F1
	v_add_u32_e32 v241, 64, v241                               // 0000000090EC: 69E3E2C0
	s_nop 0                                                    // 0000000090F0: BF800000
	v_cndmask_b32_e64 v133, v41, v133, s[40:41]                // 0000000090F4: D1000085 00A30B29
	v_cmp_lt_u32_e64 s[40:41], v242, v42                       // 0000000090FC: D0C90028 000255F2
	v_add_u32_e32 v242, 64, v242                               // 000000009104: 69E5E4C0
	s_nop 0                                                    // 000000009108: BF800000
	v_cndmask_b32_e64 v134, v41, v134, s[40:41]                // 00000000910C: D1000086 00A30D29
	v_cmp_lt_u32_e64 s[40:41], v243, v42                       // 000000009114: D0C90028 000255F3
	v_add_u32_e32 v243, 64, v243                               // 00000000911C: 69E7E6C0
	s_nop 0                                                    // 000000009120: BF800000
	v_cndmask_b32_e64 v135, v41, v135, s[40:41]                // 000000009124: D1000087 00A30F29
	v_cmp_lt_u32_e64 s[40:41], v240, v42                       // 00000000912C: D0C90028 000255F0
	v_add_u32_e32 v240, 64, v240                               // 000000009134: 69E1E0C0
	s_nop 0                                                    // 000000009138: BF800000
	v_cndmask_b32_e64 v136, v41, v136, s[40:41]                // 00000000913C: D1000088 00A31129
	v_cmp_lt_u32_e64 s[40:41], v241, v42                       // 000000009144: D0C90028 000255F1
	v_add_u32_e32 v241, 64, v241                               // 00000000914C: 69E3E2C0
	s_nop 0                                                    // 000000009150: BF800000
	v_cndmask_b32_e64 v137, v41, v137, s[40:41]                // 000000009154: D1000089 00A31329
	v_cmp_lt_u32_e64 s[40:41], v242, v42                       // 00000000915C: D0C90028 000255F2
	v_add_u32_e32 v242, 64, v242                               // 000000009164: 69E5E4C0
	s_nop 0                                                    // 000000009168: BF800000
	v_cndmask_b32_e64 v138, v41, v138, s[40:41]                // 00000000916C: D100008A 00A31529
	v_cmp_lt_u32_e64 s[40:41], v243, v42                       // 000000009174: D0C90028 000255F3
	v_add_u32_e32 v243, 64, v243                               // 00000000917C: 69E7E6C0
	s_nop 0                                                    // 000000009180: BF800000
	v_cndmask_b32_e64 v139, v41, v139, s[40:41]                // 000000009184: D100008B 00A31729
	v_cmp_lt_u32_e64 s[40:41], v240, v42                       // 00000000918C: D0C90028 000255F0
	v_add_u32_e32 v240, 64, v240                               // 000000009194: 69E1E0C0
	s_nop 0                                                    // 000000009198: BF800000
	v_cndmask_b32_e64 v140, v41, v140, s[40:41]                // 00000000919C: D100008C 00A31929
	v_cmp_lt_u32_e64 s[40:41], v241, v42                       // 0000000091A4: D0C90028 000255F1
	v_add_u32_e32 v241, 64, v241                               // 0000000091AC: 69E3E2C0
	s_nop 0                                                    // 0000000091B0: BF800000
	v_cndmask_b32_e64 v141, v41, v141, s[40:41]                // 0000000091B4: D100008D 00A31B29
	v_cmp_lt_u32_e64 s[40:41], v242, v42                       // 0000000091BC: D0C90028 000255F2
	v_add_u32_e32 v242, 64, v242                               // 0000000091C4: 69E5E4C0
	s_nop 0                                                    // 0000000091C8: BF800000
	v_cndmask_b32_e64 v142, v41, v142, s[40:41]                // 0000000091CC: D100008E 00A31D29
	v_cmp_lt_u32_e64 s[40:41], v243, v42                       // 0000000091D4: D0C90028 000255F3
	v_add_u32_e32 v243, 64, v243                               // 0000000091DC: 69E7E6C0
	s_nop 0                                                    // 0000000091E0: BF800000
	v_cndmask_b32_e64 v143, v41, v143, s[40:41]                // 0000000091E4: D100008F 00A31F29
	v_mov_b32_e32 v62, v128                                    // 0000000091EC: 7E7C0380
	v_max3_f32 v62, v128, v129, v62                            // 0000000091F0: D1D3003E 04FB0380
	v_max3_f32 v62, v130, v131, v62                            // 0000000091F8: D1D3003E 04FB0782
	v_max3_f32 v62, v132, v133, v62                            // 000000009200: D1D3003E 04FB0B84
	v_max3_f32 v62, v134, v135, v62                            // 000000009208: D1D3003E 04FB0F86
	v_max3_f32 v62, v136, v137, v62                            // 000000009210: D1D3003E 04FB1388
	v_max3_f32 v62, v138, v139, v62                            // 000000009218: D1D3003E 04FB178A
	v_max3_f32 v62, v140, v141, v62                            // 000000009220: D1D3003E 04FB1B8C
	v_max3_f32 v62, v142, v143, v62                            // 000000009228: D1D3003E 04FB1F8E
	ds_write_b32 v11, v62 offset:16896                         // 000000009230: D81A4200 00003E0B
	v_mul_u32_u24_dpp v41, v19, v68 row_newbcast:1 row_mask:0xf bank_mask:0xf// 000000009238: 105288FA FF015113
	v_mul_u32_u24_dpp v42, v19, v68 row_newbcast:5 row_mask:0xf bank_mask:0xf// 000000009240: 105488FA FF015513
	v_mul_u32_u24_dpp v43, v19, v68 row_newbcast:9 row_mask:0xf bank_mask:0xf// 000000009248: 105688FA FF015913
	v_mul_u32_u24_dpp v44, v19, v68 row_newbcast:13 row_mask:0xf bank_mask:0xf// 000000009250: 105888FA FF015D13
	v_add_u32_e32 v33, v41, v7                                 // 000000009258: 68420F29
	v_add_u32_e32 v34, v42, v7                                 // 00000000925C: 68440F2A
	v_add_u32_e32 v35, v43, v7                                 // 000000009260: 68460F2B
	v_add_u32_e32 v36, v44, v7                                 // 000000009264: 68480F2C
	v_mul_f32_e32 v224, v63, v224                              // 000000009268: 0BC1C13F
	v_mul_f32_e32 v225, v63, v225                              // 00000000926C: 0BC3C33F
	v_mul_f32_e32 v226, v63, v226                              // 000000009270: 0BC5C53F
	v_mul_f32_e32 v227, v63, v227                              // 000000009274: 0BC7C73F
	v_mul_f32_e32 v228, v63, v228                              // 000000009278: 0BC9C93F
	v_mul_f32_e32 v229, v63, v229                              // 00000000927C: 0BCBCB3F
	v_mul_f32_e32 v230, v63, v230                              // 000000009280: 0BCDCD3F
	v_mul_f32_e32 v231, v63, v231                              // 000000009284: 0BCFCF3F
	s_waitcnt lgkmcnt(0)                                       // 000000009288: BF8CC07F
	s_barrier                                                  // 00000000928C: BF8A0000
	ds_read_b32 v80, v10 offset:16896                          // 000000009290: D86C4200 5000000A
	ds_read_b32 v81, v10 offset:16960                          // 000000009298: D86C4240 5100000A
	ds_read_b32 v82, v10 offset:17024                          // 0000000092A0: D86C4280 5200000A
	ds_read_b32 v83, v10 offset:17088                          // 0000000092A8: D86C42C0 5300000A
	ds_read_b32 v84, v10 offset:17152                          // 0000000092B0: D86C4300 5400000A
	ds_read_b32 v85, v10 offset:17216                          // 0000000092B8: D86C4340 5500000A
	ds_read_b32 v86, v10 offset:17280                          // 0000000092C0: D86C4380 5600000A
	ds_read_b32 v87, v10 offset:17344                          // 0000000092C8: D86C43C0 5700000A
	ds_read_b32 v88, v10 offset:17408                          // 0000000092D0: D86C4400 5800000A
	ds_read_b32 v89, v10 offset:17472                          // 0000000092D8: D86C4440 5900000A
	ds_read_b32 v90, v10 offset:17536                          // 0000000092E0: D86C4480 5A00000A
	ds_read_b32 v91, v10 offset:17600                          // 0000000092E8: D86C44C0 5B00000A
	ds_read_b32 v92, v10 offset:17664                          // 0000000092F0: D86C4500 5C00000A
	ds_read_b32 v93, v10 offset:17728                          // 0000000092F8: D86C4540 5D00000A
	ds_read_b32 v94, v10 offset:17792                          // 000000009300: D86C4580 5E00000A
	ds_read_b32 v95, v10 offset:17856                          // 000000009308: D86C45C0 5F00000A
	v_mul_f32_e32 v192, v58, v192                              // 000000009310: 0B81813A
	v_mul_f32_e32 v193, v58, v193                              // 000000009314: 0B83833A
	v_mul_f32_e32 v194, v58, v194                              // 000000009318: 0B85853A
	v_mul_f32_e32 v195, v58, v195                              // 00000000931C: 0B87873A
	v_mul_f32_e32 v196, v58, v196                              // 000000009320: 0B89893A
	v_mul_f32_e32 v197, v58, v197                              // 000000009324: 0B8B8B3A
	v_mul_f32_e32 v198, v58, v198                              // 000000009328: 0B8D8D3A
	v_mul_f32_e32 v199, v58, v199                              // 00000000932C: 0B8F8F3A
	s_waitcnt lgkmcnt(0)                                       // 000000009330: BF8CC07F
	v_max3_f32 v62, v80, v81, v62                              // 000000009334: D1D3003E 04FAA350
	v_max3_f32 v62, v82, v83, v62                              // 00000000933C: D1D3003E 04FAA752
	v_max3_f32 v62, v84, v85, v62                              // 000000009344: D1D3003E 04FAAB54
	v_max3_f32 v62, v86, v87, v62                              // 00000000934C: D1D3003E 04FAAF56
	v_max3_f32 v62, v88, v89, v62                              // 000000009354: D1D3003E 04FAB358
	v_max3_f32 v62, v90, v91, v62                              // 00000000935C: D1D3003E 04FAB75A
	v_max3_f32 v62, v92, v93, v62                              // 000000009364: D1D3003E 04FABB5C
	v_max3_f32 v62, v94, v95, v62                              // 00000000936C: D1D3003E 04FABF5E
	v_mov_b32_e32 v41, 0xff800000                              // 000000009374: 7E5202FF FF800000
	v_cmp_eq_u32_e64 s[40:41], v41, v14                        // 00000000937C: D0CA0028 00021D29
	s_nop 1                                                    // 000000009384: BF800001
	v_max_f32_e32 v18, v62, v14                                // 000000009388: 16241D3E
	v_mul_f32_e32 v67, s64, v18                                // 00000000938C: 0A862440
	v_fma_f32 v128, v128, s64, -v67                            // 000000009390: D1CB0080 850C8180
	v_fma_f32 v129, v129, s64, -v67                            // 000000009398: D1CB0081 850C8181
	v_fma_f32 v130, v130, s64, -v67                            // 0000000093A0: D1CB0082 850C8182
	v_fma_f32 v131, v131, s64, -v67                            // 0000000093A8: D1CB0083 850C8183
	v_fma_f32 v132, v132, s64, -v67                            // 0000000093B0: D1CB0084 850C8184
	v_fma_f32 v133, v133, s64, -v67                            // 0000000093B8: D1CB0085 850C8185
	v_fma_f32 v134, v134, s64, -v67                            // 0000000093C0: D1CB0086 850C8186
	v_fma_f32 v135, v135, s64, -v67                            // 0000000093C8: D1CB0087 850C8187
	v_fma_f32 v136, v136, s64, -v67                            // 0000000093D0: D1CB0088 850C8188
	v_fma_f32 v137, v137, s64, -v67                            // 0000000093D8: D1CB0089 850C8189
	v_fma_f32 v138, v138, s64, -v67                            // 0000000093E0: D1CB008A 850C818A
	v_fma_f32 v139, v139, s64, -v67                            // 0000000093E8: D1CB008B 850C818B
	v_fma_f32 v140, v140, s64, -v67                            // 0000000093F0: D1CB008C 850C818C
	v_fma_f32 v141, v141, s64, -v67                            // 0000000093F8: D1CB008D 850C818D
	v_fma_f32 v142, v142, s64, -v67                            // 000000009400: D1CB008E 850C818E
	v_fma_f32 v143, v143, s64, -v67                            // 000000009408: D1CB008F 850C818F
	v_exp_f32_e32 v128, v128                                   // 000000009410: 7F004180
	v_exp_f32_e32 v129, v129                                   // 000000009414: 7F024181
	v_exp_f32_e32 v130, v130                                   // 000000009418: 7F044182
	v_exp_f32_e32 v131, v131                                   // 00000000941C: 7F064183
	v_exp_f32_e32 v132, v132                                   // 000000009420: 7F084184
	v_exp_f32_e32 v133, v133                                   // 000000009424: 7F0A4185
	v_exp_f32_e32 v134, v134                                   // 000000009428: 7F0C4186
	v_exp_f32_e32 v135, v135                                   // 00000000942C: 7F0E4187
	v_exp_f32_e32 v136, v136                                   // 000000009430: 7F104188
	v_exp_f32_e32 v137, v137                                   // 000000009434: 7F124189
	v_exp_f32_e32 v138, v138                                   // 000000009438: 7F14418A
	v_exp_f32_e32 v139, v139                                   // 00000000943C: 7F16418B
	v_exp_f32_e32 v140, v140                                   // 000000009440: 7F18418C
	v_exp_f32_e32 v141, v141                                   // 000000009444: 7F1A418D
	v_exp_f32_e32 v142, v142                                   // 000000009448: 7F1C418E
	v_exp_f32_e32 v143, v143                                   // 00000000944C: 7F1E418F
	v_mul_f32_dpp v240, v252, v128 quad_perm:[0,0,0,0] row_mask:0xf bank_mask:0xf// 000000009450: 0BE100FA FF0000FC
	v_mul_f32_dpp v241, v252, v129 quad_perm:[1,1,1,1] row_mask:0xf bank_mask:0xf// 000000009458: 0BE302FA FF0055FC
	v_mul_f32_dpp v242, v252, v130 quad_perm:[2,2,2,2] row_mask:0xf bank_mask:0xf// 000000009460: 0BE504FA FF00AAFC
	v_mul_f32_dpp v243, v252, v131 quad_perm:[3,3,3,3] row_mask:0xf bank_mask:0xf// 000000009468: 0BE706FA FF00FFFC
	v_mul_f32_dpp v244, v253, v132 quad_perm:[0,0,0,0] row_mask:0xf bank_mask:0xf// 000000009470: 0BE908FA FF0000FD
	v_mul_f32_dpp v245, v253, v133 quad_perm:[1,1,1,1] row_mask:0xf bank_mask:0xf// 000000009478: 0BEB0AFA FF0055FD
	v_mul_f32_dpp v246, v253, v134 quad_perm:[2,2,2,2] row_mask:0xf bank_mask:0xf// 000000009480: 0BED0CFA FF00AAFD
	v_mul_f32_dpp v247, v253, v135 quad_perm:[3,3,3,3] row_mask:0xf bank_mask:0xf// 000000009488: 0BEF0EFA FF00FFFD
	v_mul_f32_dpp v248, v254, v136 quad_perm:[0,0,0,0] row_mask:0xf bank_mask:0xf// 000000009490: 0BF110FA FF0000FE
	v_mul_f32_dpp v249, v254, v137 quad_perm:[1,1,1,1] row_mask:0xf bank_mask:0xf// 000000009498: 0BF312FA FF0055FE
	v_mul_f32_dpp v250, v254, v138 quad_perm:[2,2,2,2] row_mask:0xf bank_mask:0xf// 0000000094A0: 0BF514FA FF00AAFE
	v_mul_f32_dpp v251, v254, v139 quad_perm:[3,3,3,3] row_mask:0xf bank_mask:0xf// 0000000094A8: 0BF716FA FF00FFFE
	v_mul_f32_dpp v252, v255, v140 quad_perm:[0,0,0,0] row_mask:0xf bank_mask:0xf// 0000000094B0: 0BF918FA FF0000FF
	v_mul_f32_dpp v253, v255, v141 quad_perm:[1,1,1,1] row_mask:0xf bank_mask:0xf// 0000000094B8: 0BFB1AFA FF0055FF
	v_mul_f32_dpp v254, v255, v142 quad_perm:[2,2,2,2] row_mask:0xf bank_mask:0xf// 0000000094C0: 0BFD1CFA FF00AAFF
	v_mul_f32_dpp v255, v255, v143 quad_perm:[3,3,3,3] row_mask:0xf bank_mask:0xf// 0000000094C8: 0BFF1EFA FF00FFFF
	v_mov_b32_e32 v62, 0x358637bd                              // 0000000094D0: 7E7C02FF 358637BD
	v_max3_f32 v62, |v240|, |v241|, v62                        // 0000000094D8: D1D3033E 04FBE3F0
	v_max3_f32 v62, |v242|, |v243|, v62                        // 0000000094E0: D1D3033E 04FBE7F2
	v_max3_f32 v62, |v244|, |v245|, v62                        // 0000000094E8: D1D3033E 04FBEBF4
	v_max3_f32 v62, |v246|, |v247|, v62                        // 0000000094F0: D1D3033E 04FBEFF6
	v_max3_f32 v62, |v248|, |v249|, v62                        // 0000000094F8: D1D3033E 04FBF3F8
	v_max3_f32 v62, |v250|, |v251|, v62                        // 000000009500: D1D3033E 04FBF7FA
	v_max3_f32 v62, |v252|, |v253|, v62                        // 000000009508: D1D3033E 04FBFBFC
	v_max3_f32 v62, |v254|, |v255|, v62                        // 000000009510: D1D3033E 04FBFFFE
	ds_write_b32 v11, v62 offset:20992                         // 000000009518: D81A5200 00003E0B
	v_sub_f32_e32 v63, v14, v18                                // 000000009520: 047E250E
	v_cndmask_b32_e64 v63, v63, 0, s[40:41]                    // 000000009524: D100003F 00A1013F
	v_mov_b32_e32 v14, v18                                     // 00000000952C: 7E1C0312
	v_mul_f32_e32 v63, s64, v63                                // 000000009530: 0A7E7E40
	v_exp_f32_e32 v63, v63                                     // 000000009534: 7E7E413F
	s_waitcnt lgkmcnt(0)                                       // 000000009538: BF8CC07F
	s_barrier                                                  // 00000000953C: BF8A0000
	ds_read_b32 v80, v10 offset:20992                          // 000000009540: D86C5200 5000000A
	ds_read_b32 v81, v10 offset:21056                          // 000000009548: D86C5240 5100000A
	ds_read_b32 v82, v10 offset:21120                          // 000000009550: D86C5280 5200000A
	ds_read_b32 v83, v10 offset:21184                          // 000000009558: D86C52C0 5300000A
	ds_read_b32 v84, v10 offset:21248                          // 000000009560: D86C5300 5400000A
	ds_read_b32 v85, v10 offset:21312                          // 000000009568: D86C5340 5500000A
	ds_read_b32 v86, v10 offset:21376                          // 000000009570: D86C5380 5600000A
	ds_read_b32 v87, v10 offset:21440                          // 000000009578: D86C53C0 5700000A
	ds_read_b32 v88, v10 offset:21504                          // 000000009580: D86C5400 5800000A
	ds_read_b32 v89, v10 offset:21568                          // 000000009588: D86C5440 5900000A
	ds_read_b32 v90, v10 offset:21632                          // 000000009590: D86C5480 5A00000A
	ds_read_b32 v91, v10 offset:21696                          // 000000009598: D86C54C0 5B00000A
	ds_read_b32 v92, v10 offset:21760                          // 0000000095A0: D86C5500 5C00000A
	ds_read_b32 v93, v10 offset:21824                          // 0000000095A8: D86C5540 5D00000A
	ds_read_b32 v94, v10 offset:21888                          // 0000000095B0: D86C5580 5E00000A
	ds_read_b32 v95, v10 offset:21952                          // 0000000095B8: D86C55C0 5F00000A
	v_mul_f32_e32 v47, v63, v47                                // 0000000095C0: 0A5E5F3F
	v_mov_b32_e32 v18, v128                                    // 0000000095C4: 7E240380
	v_add_f32_e32 v18, v129, v18                               // 0000000095C8: 02242581
	v_add_f32_e32 v18, v130, v18                               // 0000000095CC: 02242582
	v_add_f32_e32 v18, v131, v18                               // 0000000095D0: 02242583
	v_add_f32_e32 v18, v132, v18                               // 0000000095D4: 02242584
	v_add_f32_e32 v18, v133, v18                               // 0000000095D8: 02242585
	v_add_f32_e32 v18, v134, v18                               // 0000000095DC: 02242586
	v_add_f32_e32 v18, v135, v18                               // 0000000095E0: 02242587
	v_add_f32_e32 v18, v136, v18                               // 0000000095E4: 02242588
	v_add_f32_e32 v18, v137, v18                               // 0000000095E8: 02242589
	v_add_f32_e32 v18, v138, v18                               // 0000000095EC: 0224258A
	v_add_f32_e32 v18, v139, v18                               // 0000000095F0: 0224258B
	v_add_f32_e32 v18, v140, v18                               // 0000000095F4: 0224258C
	v_add_f32_e32 v18, v141, v18                               // 0000000095F8: 0224258D
	v_add_f32_e32 v18, v142, v18                               // 0000000095FC: 0224258E
	v_add_f32_e32 v18, v143, v18                               // 000000009600: 0224258F
	v_add_f32_e32 v47, v18, v47                                // 000000009604: 025E5F12
	s_waitcnt lgkmcnt(0)                                       // 000000009608: BF8CC07F
	v_max3_f32 v62, |v80|, |v81|, v62                          // 00000000960C: D1D3033E 04FAA350
	v_max3_f32 v62, |v82|, |v83|, v62                          // 000000009614: D1D3033E 04FAA752
	v_max3_f32 v62, |v84|, |v85|, v62                          // 00000000961C: D1D3033E 04FAAB54
	v_max3_f32 v62, |v86|, |v87|, v62                          // 000000009624: D1D3033E 04FAAF56
	v_max3_f32 v62, |v88|, |v89|, v62                          // 00000000962C: D1D3033E 04FAB358
	v_max3_f32 v62, |v90|, |v91|, v62                          // 000000009634: D1D3033E 04FAB75A
	v_max3_f32 v62, |v92|, |v93|, v62                          // 00000000963C: D1D3033E 04FABB5C
	v_max3_f32 v62, |v94|, |v95|, v62                          // 000000009644: D1D3033E 04FABF5E
	s_nop 2                                                    // 00000000964C: BF800002
	v_rcp_f32_e32 v62, v62                                     // 000000009650: 7E7C453E
	s_nop 1                                                    // 000000009654: BF800001
	v_mul_f32_e32 v62, 0x43700000, v62                         // 000000009658: 0A7C7CFF 43700000
	v_mul_f32_e32 v128, v62, v240                              // 000000009660: 0B01E13E
	v_mul_f32_e32 v129, v62, v241                              // 000000009664: 0B03E33E
	v_mul_f32_e32 v130, v62, v242                              // 000000009668: 0B05E53E
	v_mul_f32_e32 v131, v62, v243                              // 00000000966C: 0B07E73E
	v_mul_f32_e32 v132, v62, v244                              // 000000009670: 0B09E93E
	v_mul_f32_e32 v133, v62, v245                              // 000000009674: 0B0BEB3E
	v_mul_f32_e32 v134, v62, v246                              // 000000009678: 0B0DED3E
	v_mul_f32_e32 v135, v62, v247                              // 00000000967C: 0B0FEF3E
	v_mul_f32_e32 v136, v62, v248                              // 000000009680: 0B11F13E
	v_mul_f32_e32 v137, v62, v249                              // 000000009684: 0B13F33E
	v_mul_f32_e32 v138, v62, v250                              // 000000009688: 0B15F53E
	v_mul_f32_e32 v139, v62, v251                              // 00000000968C: 0B17F73E
	v_mul_f32_e32 v140, v62, v252                              // 000000009690: 0B19F93E
	v_mul_f32_e32 v141, v62, v253                              // 000000009694: 0B1BFB3E
	v_mul_f32_e32 v142, v62, v254                              // 000000009698: 0B1DFD3E
	v_mul_f32_e32 v143, v62, v255                              // 00000000969C: 0B1FFF3E
	v_cvt_pk_fp8_f32 v128, v128, v129                          // 0000000096A0: D2A20080 00030380
	v_cvt_pk_fp8_f32 v128, v130, v131 op_sel:[0,0,1]           // 0000000096A8: D2A24080 00030782
	v_cvt_pk_fp8_f32 v129, v132, v133                          // 0000000096B0: D2A20081 00030B84
	v_cvt_pk_fp8_f32 v129, v134, v135 op_sel:[0,0,1]           // 0000000096B8: D2A24081 00030F86
	v_cvt_pk_fp8_f32 v130, v136, v137                          // 0000000096C0: D2A20082 00031388
	v_cvt_pk_fp8_f32 v130, v138, v139 op_sel:[0,0,1]           // 0000000096C8: D2A24082 0003178A
	v_cvt_pk_fp8_f32 v131, v140, v141                          // 0000000096D0: D2A20083 00031B8C
	v_cvt_pk_fp8_f32 v131, v142, v143 op_sel:[0,0,1]           // 0000000096D8: D2A24083 00031F8E
	ds_write_b32 v13, v128 offset:25088                        // 0000000096E0: D81A6200 0000800D
	ds_write_b32 v13, v129 offset:26112                        // 0000000096E8: D81A6600 0000810D
	ds_write_b32 v13, v130 offset:27136                        // 0000000096F0: D81A6A00 0000820D
	ds_write_b32 v13, v131 offset:28160                        // 0000000096F8: D81A6E00 0000830D
	v_add_f32_e32 v224, v224, v192                             // 000000009700: 03C181E0
	v_add_f32_e32 v225, v225, v193                             // 000000009704: 03C383E1
	v_add_f32_e32 v226, v226, v194                             // 000000009708: 03C585E2
	v_add_f32_e32 v227, v227, v195                             // 00000000970C: 03C787E3
	v_add_f32_e32 v228, v228, v196                             // 000000009710: 03C989E4
	v_add_f32_e32 v229, v229, v197                             // 000000009714: 03CB8BE5
	v_add_f32_e32 v230, v230, v198                             // 000000009718: 03CD8DE6
	v_add_f32_e32 v231, v231, v199                             // 00000000971C: 03CF8FE7
	v_rcp_f32_e32 v58, v62                                     // 000000009720: 7E74453E
	s_waitcnt lgkmcnt(0)                                       // 000000009724: BF8CC07F
	s_barrier                                                  // 000000009728: BF8A0000
	ds_read_b64 v[128:129], v12 offset:25088                   // 00000000972C: D8EC6200 8000000C
	ds_read_b64 v[130:131], v12 offset:25216                   // 000000009734: D8EC6280 8200000C
	ds_read_b64 v[132:133], v12 offset:26112                   // 00000000973C: D8EC6600 8400000C
	ds_read_b64 v[134:135], v12 offset:26240                   // 000000009744: D8EC6680 8600000C
	ds_read_b64 v[136:137], v12 offset:27136                   // 00000000974C: D8EC6A00 8800000C
	ds_read_b64 v[138:139], v12 offset:27264                   // 000000009754: D8EC6A80 8A00000C
	ds_read_b64 v[140:141], v12 offset:28160                   // 00000000975C: D8EC6E00 8C00000C
	ds_read_b64 v[142:143], v12 offset:28288                   // 000000009764: D8EC6E80 8E00000C
	s_waitcnt vmcnt(0)                                         // 00000000976C: BF8C0F70
	s_barrier                                                  // 000000009770: BF8A0000
	s_waitcnt lgkmcnt(7)                                       // 000000009774: BF8CC77F
	v_mfma_f32_16x16x32_fp8_fp8 v[192:195], a[96:97], v[128:129], 0// 000000009778: D3F300C0 0A030160
	s_waitcnt lgkmcnt(6)                                       // 000000009780: BF8CC67F
	v_mfma_f32_16x16x32_fp8_fp8 v[192:195], a[98:99], v[130:131], v[192:195]// 000000009784: D3F300C0 0F030562
	s_waitcnt lgkmcnt(5)                                       // 00000000978C: BF8CC57F
	v_mfma_f32_16x16x32_fp8_fp8 v[192:195], a[100:101], v[132:133], v[192:195]// 000000009790: D3F300C0 0F030964
	s_waitcnt lgkmcnt(4)                                       // 000000009798: BF8CC47F
	v_mfma_f32_16x16x32_fp8_fp8 v[192:195], a[102:103], v[134:135], v[192:195]// 00000000979C: D3F300C0 0F030D66
	s_waitcnt lgkmcnt(3)                                       // 0000000097A4: BF8CC37F
	v_mfma_f32_16x16x32_fp8_fp8 v[192:195], a[104:105], v[136:137], v[192:195]// 0000000097A8: D3F300C0 0F031168
	s_waitcnt lgkmcnt(2)                                       // 0000000097B0: BF8CC27F
	v_mfma_f32_16x16x32_fp8_fp8 v[192:195], a[106:107], v[138:139], v[192:195]// 0000000097B4: D3F300C0 0F03156A
	s_waitcnt lgkmcnt(1)                                       // 0000000097BC: BF8CC17F
	v_mfma_f32_16x16x32_fp8_fp8 v[192:195], a[108:109], v[140:141], v[192:195]// 0000000097C0: D3F300C0 0F03196C
	s_waitcnt lgkmcnt(0)                                       // 0000000097C8: BF8CC07F
	v_mfma_f32_16x16x32_fp8_fp8 v[192:195], a[110:111], v[142:143], v[192:195]// 0000000097CC: D3F300C0 0F031D6E
	v_mfma_f32_16x16x32_fp8_fp8 v[196:199], a[112:113], v[128:129], 0// 0000000097D4: D3F300C4 0A030170
	v_mfma_f32_16x16x32_fp8_fp8 v[196:199], a[114:115], v[130:131], v[196:199]// 0000000097DC: D3F300C4 0F130572
	v_mfma_f32_16x16x32_fp8_fp8 v[196:199], a[116:117], v[132:133], v[196:199]// 0000000097E4: D3F300C4 0F130974
	v_mfma_f32_16x16x32_fp8_fp8 v[196:199], a[118:119], v[134:135], v[196:199]// 0000000097EC: D3F300C4 0F130D76
	v_mfma_f32_16x16x32_fp8_fp8 v[196:199], a[120:121], v[136:137], v[196:199]// 0000000097F4: D3F300C4 0F131178
	v_mfma_f32_16x16x32_fp8_fp8 v[196:199], a[122:123], v[138:139], v[196:199]// 0000000097FC: D3F300C4 0F13157A
	v_mfma_f32_16x16x32_fp8_fp8 v[196:199], a[124:125], v[140:141], v[196:199]// 000000009804: D3F300C4 0F13197C
	v_mfma_f32_16x16x32_fp8_fp8 v[196:199], a[126:127], v[142:143], v[196:199]// 00000000980C: D3F300C4 0F131D7E
	s_nop 4                                                    // 000000009814: BF800004
	s_branch label_1D87                                        // 000000009818: BF820000

000000000000981c <label_1D87>:
	v_mul_f32_e32 v224, v63, v224                              // 00000000981C: 0BC1C13F
	v_mul_f32_e32 v225, v63, v225                              // 000000009820: 0BC3C33F
	v_mul_f32_e32 v226, v63, v226                              // 000000009824: 0BC5C53F
	v_mul_f32_e32 v227, v63, v227                              // 000000009828: 0BC7C73F
	v_mul_f32_e32 v228, v63, v228                              // 00000000982C: 0BC9C93F
	v_mul_f32_e32 v229, v63, v229                              // 000000009830: 0BCBCB3F
	v_mul_f32_e32 v230, v63, v230                              // 000000009834: 0BCDCD3F
	v_mul_f32_e32 v231, v63, v231                              // 000000009838: 0BCFCF3F
	v_mul_f32_e32 v192, v58, v192                              // 00000000983C: 0B81813A
	v_mul_f32_e32 v193, v58, v193                              // 000000009840: 0B83833A
	v_mul_f32_e32 v194, v58, v194                              // 000000009844: 0B85853A
	v_mul_f32_e32 v195, v58, v195                              // 000000009848: 0B87873A
	v_mul_f32_e32 v196, v58, v196                              // 00000000984C: 0B89893A
	v_mul_f32_e32 v197, v58, v197                              // 000000009850: 0B8B8B3A
	v_mul_f32_e32 v198, v58, v198                              // 000000009854: 0B8D8D3A
	v_mul_f32_e32 v199, v58, v199                              // 000000009858: 0B8F8F3A
	v_add_f32_e32 v224, v224, v192                             // 00000000985C: 03C181E0
	v_add_f32_e32 v225, v225, v193                             // 000000009860: 03C383E1
	v_add_f32_e32 v226, v226, v194                             // 000000009864: 03C585E2
	v_add_f32_e32 v227, v227, v195                             // 000000009868: 03C787E3
	v_add_f32_e32 v228, v228, v196                             // 00000000986C: 03C989E4
	v_add_f32_e32 v229, v229, v197                             // 000000009870: 03CB8BE5
	v_add_f32_e32 v230, v230, v198                             // 000000009874: 03CD8DE6
	v_add_f32_e32 v231, v231, v199                             // 000000009878: 03CF8FE7
	ds_write_b32 v11, v47 offset:16896                         // 00000000987C: D81A4200 00002F0B
	s_waitcnt lgkmcnt(0)                                       // 000000009884: BF8CC07F
	s_barrier                                                  // 000000009888: BF8A0000
	ds_read_b32 v80, v10 offset:16896                          // 00000000988C: D86C4200 5000000A
	ds_read_b32 v81, v10 offset:16960                          // 000000009894: D86C4240 5100000A
	ds_read_b32 v82, v10 offset:17024                          // 00000000989C: D86C4280 5200000A
	ds_read_b32 v83, v10 offset:17088                          // 0000000098A4: D86C42C0 5300000A
	ds_read_b32 v84, v10 offset:17152                          // 0000000098AC: D86C4300 5400000A
	ds_read_b32 v85, v10 offset:17216                          // 0000000098B4: D86C4340 5500000A
	ds_read_b32 v86, v10 offset:17280                          // 0000000098BC: D86C4380 5600000A
	ds_read_b32 v87, v10 offset:17344                          // 0000000098C4: D86C43C0 5700000A
	ds_read_b32 v88, v10 offset:17408                          // 0000000098CC: D86C4400 5800000A
	ds_read_b32 v89, v10 offset:17472                          // 0000000098D4: D86C4440 5900000A
	ds_read_b32 v90, v10 offset:17536                          // 0000000098DC: D86C4480 5A00000A
	ds_read_b32 v91, v10 offset:17600                          // 0000000098E4: D86C44C0 5B00000A
	ds_read_b32 v92, v10 offset:17664                          // 0000000098EC: D86C4500 5C00000A
	ds_read_b32 v93, v10 offset:17728                          // 0000000098F4: D86C4540 5D00000A
	ds_read_b32 v94, v10 offset:17792                          // 0000000098FC: D86C4580 5E00000A
	ds_read_b32 v95, v10 offset:17856                          // 000000009904: D86C45C0 5F00000A
	s_waitcnt lgkmcnt(0)                                       // 00000000990C: BF8CC07F
	v_mov_b32_e32 v47, 0                                       // 000000009910: 7E5E0280
	v_add_f32_e32 v47, v80, v47                                // 000000009914: 025E5F50
	v_add_f32_e32 v47, v81, v47                                // 000000009918: 025E5F51
	v_add_f32_e32 v47, v82, v47                                // 00000000991C: 025E5F52
	v_add_f32_e32 v47, v83, v47                                // 000000009920: 025E5F53
	v_add_f32_e32 v47, v84, v47                                // 000000009924: 025E5F54
	v_add_f32_e32 v47, v85, v47                                // 000000009928: 025E5F55
	v_add_f32_e32 v47, v86, v47                                // 00000000992C: 025E5F56
	v_add_f32_e32 v47, v87, v47                                // 000000009930: 025E5F57
	v_add_f32_e32 v47, v88, v47                                // 000000009934: 025E5F58
	v_add_f32_e32 v47, v89, v47                                // 000000009938: 025E5F59
	v_add_f32_e32 v47, v90, v47                                // 00000000993C: 025E5F5A
	v_add_f32_e32 v47, v91, v47                                // 000000009940: 025E5F5B
	v_add_f32_e32 v47, v92, v47                                // 000000009944: 025E5F5C
	v_add_f32_e32 v47, v93, v47                                // 000000009948: 025E5F5D
	v_add_f32_e32 v47, v94, v47                                // 00000000994C: 025E5F5E
	v_add_f32_e32 v47, v95, v47                                // 000000009950: 025E5F5F
	s_nop 1                                                    // 000000009954: BF800001
	v_rcp_f32_e32 v47, v47                                     // 000000009958: 7E5E452F
	s_nop 1                                                    // 00000000995C: BF800001
	v_mul_f32_e32 v224, v47, v224                              // 000000009960: 0BC1C12F
	v_mul_f32_e32 v225, v47, v225                              // 000000009964: 0BC3C32F
	v_mul_f32_e32 v226, v47, v226                              // 000000009968: 0BC5C52F
	v_mul_f32_e32 v227, v47, v227                              // 00000000996C: 0BC7C72F
	v_mul_f32_e32 v228, v47, v228                              // 000000009970: 0BC9C92F
	v_mul_f32_e32 v229, v47, v229                              // 000000009974: 0BCBCB2F
	v_mul_f32_e32 v230, v47, v230                              // 000000009978: 0BCDCD2F
	v_mul_f32_e32 v231, v47, v231                              // 00000000997C: 0BCFCF2F
	v_cvt_pkrtz_f16_f32 v41, v224, v225                        // 000000009980: D2960029 0003C3E0
	v_mov_b32_e32 v224, v41                                    // 000000009988: 7FC00329
	v_cvt_pkrtz_f16_f32 v41, v226, v227                        // 00000000998C: D2960029 0003C7E2
	v_mov_b32_e32 v225, v41                                    // 000000009994: 7FC20329
	v_cvt_pkrtz_f16_f32 v41, v228, v229                        // 000000009998: D2960029 0003CBE4
	v_mov_b32_e32 v226, v41                                    // 0000000099A0: 7FC40329
	v_cvt_pkrtz_f16_f32 v41, v230, v231                        // 0000000099A4: D2960029 0003CFE6
	v_mov_b32_e32 v227, v41                                    // 0000000099AC: 7FC60329
	s_nop 1                                                    // 0000000099B0: BF800001
	v_lshrrev_b32_e32 v41, 4, v0                               // 0000000099B4: 20520084
	v_mul_i32_i24_e32 v45, 34, v41                             // 0000000099B8: 0C5A52A2
	v_and_b32_e32 v41, 15, v0                                  // 0000000099BC: 2652008F
	v_mul_i32_i24_e32 v42, 2, v41                              // 0000000099C0: 0C545282
	v_add_u32_e32 v45, v42, v45                                // 0000000099C4: 685A5B2A
	s_mul_i32 s60, s7, 0x88                                    // 0000000099C8: 923CFF07 00000088
	v_add_u32_e32 v45, s60, v45                                // 0000000099D0: 685A5A3C
	v_lshlrev_b32_e32 v45, 2, v45                              // 0000000099D4: 245A5A82
	ds_write_b64 v45, v[224:225] offset:41472                  // 0000000099D8: D89AA200 0000E02D
	ds_write_b64 v45, v[226:227] offset:43648                  // 0000000099E0: D89AAA80 0000E22D
	v_lshrrev_b32_e32 v41, 1, v0                               // 0000000099E8: 20520081
	v_mul_i32_i24_e32 v45, 34, v41                             // 0000000099EC: 0C5A52A2
	v_and_b32_e32 v42, 1, v0                                   // 0000000099F0: 26540081
	v_add_u32_e32 v45, v42, v45                                // 0000000099F4: 685A5B2A
	s_mul_i32 s60, s7, 2                                       // 0000000099F8: 923C8207
	v_add_u32_e32 v45, s60, v45                                // 0000000099FC: 685A5A3C
	v_lshlrev_b32_e32 v45, 2, v45                              // 000000009A00: 245A5A82
	s_waitcnt lgkmcnt(0)                                       // 000000009A04: BF8CC07F
	s_barrier                                                  // 000000009A08: BF8A0000
	ds_read_b32 v224, v45 offset:41472                         // 000000009A0C: D86CA200 E000002D
	ds_read_b32 v225, v45 offset:41504                         // 000000009A14: D86CA220 E100002D
	ds_read_b32 v226, v45 offset:41536                         // 000000009A1C: D86CA240 E200002D
	ds_read_b32 v227, v45 offset:41568                         // 000000009A24: D86CA260 E300002D
	s_mul_i32 s60, s7, 0x100                                   // 000000009A2C: 923CFF07 00000100
	v_lshlrev_b32_e32 v41, 2, v0                               // 000000009A34: 24520082
	v_add_u32_e64 v41, v41, s60                                // 000000009A38: D1340029 00007929
	s_waitcnt lgkmcnt(0)                                       // 000000009A40: BF8CC07F
	buffer_store_dword v224, v41, s[8:11], 0 offen             // 000000009A44: E0701000 8002E029
	buffer_store_dword v225, v41, s[8:11], 0 offen offset:1024 // 000000009A4C: E0701400 8002E129
	s_add_u32 s8, s75, s8                                      // 000000009A54: 8008084B
	s_addc_u32 s9, 0, s9                                       // 000000009A58: 82090980
	buffer_store_dword v226, v41, s[8:11], 0 offen             // 000000009A5C: E0701000 8002E229
	buffer_store_dword v227, v41, s[8:11], 0 offen offset:1024 // 000000009A64: E0701400 8002E329
	s_add_u32 s8, s75, s8                                      // 000000009A6C: 8008084B
	s_addc_u32 s9, 0, s9                                       // 000000009A70: 82090980
	s_branch label_3D58                                        // 000000009A74: BF821F3A

0000000000009a78 <label_1E1E>:
	s_mov_b32 s88, 0xa0                                        // 000000009A78: BED800FF 000000A0

0000000000009a80 <label_1E20>:
	s_mul_i32 s60, s3, s65                                     // 000000009A80: 923C4103
	s_mul_i32 s60, s60, 4                                      // 000000009A84: 923C843C
	s_add_u32 s24, s60, s24                                    // 000000009A88: 8018183C
	s_addc_u32 s25, 0, s25                                     // 000000009A8C: 82191980
	s_mov_b32 s56, 64                                          // 000000009A90: BEB800C0
	s_add_u32 s73, s72, 15                                     // 000000009A94: 80498F48
	s_lshr_b32 s73, s73, 4                                     // 000000009A98: 8F498449
	s_mul_i32 s60, s73, 4                                      // 000000009A9C: 923C8449
	s_mov_b32 s26, s60                                         // 000000009AA0: BE9A003C
	v_and_b32_e32 v42, 3, v0                                   // 000000009AA4: 26540083
	v_cmp_eq_u32_e64 s[60:61], 0, v42                          // 000000009AA8: D0CA003C 00025480
	v_and_b32_e32 v41, 12, v0                                  // 000000009AB0: 2652008C
	v_add_u32_e32 v1, s7, v41                                  // 000000009AB4: 68025207
	v_cndmask_b32_e64 v1, 0, v1, s[60:61]                      // 000000009AB8: D1000001 00F20280
	v_and_b32_e32 v42, 3, v0                                   // 000000009AC0: 26540083
	v_cmp_eq_u32_e64 s[60:61], 1, v42                          // 000000009AC4: D0CA003C 00025481
	v_lshrrev_b32_e32 v41, 4, v0                               // 000000009ACC: 20520084
	v_and_b32_e32 v42, 12, v0                                  // 000000009AD0: 2654008C
	v_add_u32_e32 v41, v42, v41                                // 000000009AD4: 6852532A
	v_cndmask_b32_e64 v41, 0, v41, s[60:61]                    // 000000009AD8: D1000029 00F25280
	v_add_u32_e32 v1, v1, v41                                  // 000000009AE0: 68025301
	v_lshlrev_b32_e32 v1, 2, v1                                // 000000009AE4: 24020282
	buffer_load_dword v19, v1, s[24:27], 0 offen               // 000000009AE8: E0501000 80061301
	v_add_u32_e32 v1, s56, v1                                  // 000000009AF0: 68020238
	buffer_load_dword v20, v1, s[24:27], 0 offen               // 000000009AF4: E0501000 80061401
	s_cmp_le_u32 s73, 32                                       // 000000009AFC: BF0BA049
	s_cselect_b32 s56, 0, s56                                  // 000000009B00: 85383880
	s_mul_i32 s60, s2, s67                                     // 000000009B04: 923C4302
	s_mul_i32 s61, s84, s74                                    // 000000009B08: 923D4A54
	s_add_u32 s60, s60, s61                                    // 000000009B0C: 803C3D3C
	s_add_u32 s12, s60, s12                                    // 000000009B10: 800C0C3C
	s_addc_u32 s13, 0, s13                                     // 000000009B14: 820D0D80
	s_mul_i32 s60, s7, 0x108                                   // 000000009B18: 923CFF07 00000108
	s_add_u32 m0, 0, s60                                       // 000000009B20: 807C3C80
	s_mul_i32 s60, s7, 0x100                                   // 000000009B24: 923CFF07 00000100
	v_lshlrev_b32_e32 v41, 2, v0                               // 000000009B2C: 24520082
	v_add_u32_e64 v41, v41, s60                                // 000000009B30: D1340029 00007929
	v_add_u32_e32 v42, 0x400, v41                              // 000000009B38: 685452FF 00000400
	buffer_load_dword v41, s[12:15], 0 offen lds               // 000000009B40: E0511000 80030029
	s_mul_i32 s60, 4, 0x108                                    // 000000009B48: 923CFF84 00000108
	s_add_u32 m0, m0, s60                                      // 000000009B50: 807C3C7C
	buffer_load_dword v42, s[12:15], 0 offen lds               // 000000009B54: E0511000 8003002A
	s_mul_i32 s60, 4, 0x108                                    // 000000009B5C: 923CFF84 00000108
	s_add_u32 m0, m0, s60                                      // 000000009B64: 807C3C7C
	s_add_u32 s12, s74, s12                                    // 000000009B68: 800C0C4A
	s_addc_u32 s13, 0, s13                                     // 000000009B6C: 820D0D80
	buffer_load_dword v41, s[12:15], 0 offen lds               // 000000009B70: E0511000 80030029
	s_mul_i32 s60, 4, 0x108                                    // 000000009B78: 923CFF84 00000108
	s_add_u32 m0, m0, s60                                      // 000000009B80: 807C3C7C
	buffer_load_dword v42, s[12:15], 0 offen lds               // 000000009B84: E0511000 8003002A
	s_mul_i32 s60, 4, 0x108                                    // 000000009B8C: 923CFF84 00000108
	s_add_u32 m0, m0, s60                                      // 000000009B94: 807C3C7C
	s_add_u32 s12, s74, s12                                    // 000000009B98: 800C0C4A
	s_addc_u32 s13, 0, s13                                     // 000000009B9C: 820D0D80
	buffer_load_dword v41, s[12:15], 0 offen lds               // 000000009BA0: E0511000 80030029
	s_mul_i32 s60, 4, 0x108                                    // 000000009BA8: 923CFF84 00000108
	s_add_u32 m0, m0, s60                                      // 000000009BB0: 807C3C7C
	buffer_load_dword v42, s[12:15], 0 offen lds               // 000000009BB4: E0511000 8003002A
	s_mul_i32 s60, 4, 0x108                                    // 000000009BBC: 923CFF84 00000108
	s_add_u32 m0, m0, s60                                      // 000000009BC4: 807C3C7C
	s_add_u32 s12, s74, s12                                    // 000000009BC8: 800C0C4A
	s_addc_u32 s13, 0, s13                                     // 000000009BCC: 820D0D80
	buffer_load_dword v41, s[12:15], 0 offen lds               // 000000009BD0: E0511000 80030029
	s_mul_i32 s60, 4, 0x108                                    // 000000009BD8: 923CFF84 00000108
	s_add_u32 m0, m0, s60                                      // 000000009BE0: 807C3C7C
	buffer_load_dword v42, s[12:15], 0 offen lds               // 000000009BE4: E0511000 8003002A
	s_mul_i32 s60, 4, 0x108                                    // 000000009BEC: 923CFF84 00000108
	s_add_u32 m0, m0, s60                                      // 000000009BF4: 807C3C7C
	s_add_u32 s12, s74, s12                                    // 000000009BF8: 800C0C4A
	s_addc_u32 s13, 0, s13                                     // 000000009BFC: 820D0D80
	v_lshrrev_b32_e32 v41, 4, v0                               // 000000009C00: 20520084
	v_lshlrev_b32_e32 v41, 2, v41                              // 000000009C04: 24525282
	v_and_b32_e32 v42, 3, v0                                   // 000000009C08: 26540083
	v_add_u32_e32 v41, v42, v41                                // 000000009C0C: 6852532A
	v_lshlrev_b32_e32 v74, 2, v41                              // 000000009C10: 24945282
	v_mov_b32_e32 v75, v74                                     // 000000009C14: 7E96034A
	s_mul_i32 s60, s2, 64                                      // 000000009C18: 923CC002
	s_add_u32 s32, s60, s32                                    // 000000009C1C: 8020203C
	s_addc_u32 s33, 0, s33                                     // 000000009C20: 82212180
	s_add_u32 s36, s60, s36                                    // 000000009C24: 8024243C
	s_addc_u32 s37, 0, s37                                     // 000000009C28: 82252580
	s_mul_i32 s60, s2, s76                                     // 000000009C2C: 923C4C02
	s_mul_i32 s61, s84, s75                                    // 000000009C30: 923D4B54
	s_add_u32 s60, s60, s61                                    // 000000009C34: 803C3D3C
	s_add_u32 s8, s60, s8                                      // 000000009C38: 8008083C
	s_addc_u32 s9, 0, s9                                       // 000000009C3C: 82090980
	s_mov_b32 s70, 0                                           // 000000009C40: BEC60080
	s_and_b32 s71, s72, 0xffffff00                             // 000000009C44: 8647FF48 FFFFFF00
	s_mov_b32 s42, 0xff00ff00                                  // 000000009C4C: BEAA00FF FF00FF00
	s_mov_b32 s43, 0xff00ff00                                  // 000000009C54: BEAB00FF FF00FF00
	s_mov_b32 s44, 0xf0f0f0f0                                  // 000000009C5C: BEAC00FF F0F0F0F0
	s_mov_b32 s45, 0xf0f0f0f0                                  // 000000009C64: BEAD00FF F0F0F0F0
	s_mov_b32 s78, 0xff00ff                                    // 000000009C6C: BECE00FF 00FF00FF
	s_mov_b32 s79, 0xff00ff                                    // 000000009C74: BECF00FF 00FF00FF
	v_mul_i32_i24_e64 v78, 64, s66                             // 000000009C7C: D106004E 000084C0
	v_mov_b32_e32 v68, s68                                     // 000000009C84: 7E880244
	s_mov_b32 s52, 0x7060302                                   // 000000009C88: BEB400FF 07060302
	s_mov_b32 s53, 0x400                                       // 000000009C90: BEB500FF 00000400
	s_mov_b32 s54, 0x40100                                     // 000000009C98: BEB600FF 00040100
	s_mov_b32 s55, 0x4020100                                   // 000000009CA0: BEB700FF 04020100
	s_mov_b32 s6, 0x3fb8aa3b                                   // 000000009CA8: BE8600FF 3FB8AA3B
	v_mov_b32_e32 v14, 0xff800000                              // 000000009CB0: 7E1C02FF FF800000
	v_mov_b32_e32 v15, 0xff800000                              // 000000009CB8: 7E1E02FF FF800000
	v_mov_b32_e32 v63, 0                                       // 000000009CC0: 7E7E0280
	v_mov_b32_e32 v64, 0                                       // 000000009CC4: 7E800280
	v_mov_b32_e32 v47, 0                                       // 000000009CC8: 7E5E0280
	v_mov_b32_e32 v48, 0                                       // 000000009CCC: 7E600280
	v_mov_b32_e32 v58, 0                                       // 000000009CD0: 7E740280
	v_mov_b32_e32 v59, 0                                       // 000000009CD4: 7E760280
	v_mov_b32_e32 v22, 0xffff0000                              // 000000009CD8: 7E2C02FF FFFF0000
	v_mov_b32_e32 v23, 0x7fff0000                              // 000000009CE0: 7E2E02FF 7FFF0000
	v_mov_b32_e32 v24, 0x7fff                                  // 000000009CE8: 7E3002FF 00007FFF
	v_add_u32_e32 v1, s56, v1                                  // 000000009CF0: 68020238
	v_and_b32_e32 v10, 15, v0                                  // 000000009CF4: 2614008F
	v_lshlrev_b32_e32 v10, 2, v10                              // 000000009CF8: 24141482
	v_lshlrev_b32_e32 v11, 2, v0                               // 000000009CFC: 24160082
	s_mul_i32 s60, 0x100, s7                                   // 000000009D00: 923C07FF 00000100
	v_add_u32_e32 v11, s60, v11                                // 000000009D08: 6816163C
	v_lshrrev_b32_e32 v41, 4, v0                               // 000000009D0C: 20520084
	v_lshlrev_b32_e32 v42, 6, v41                              // 000000009D10: 24545286
	v_and_b32_e32 v41, 15, v0                                  // 000000009D14: 2652008F
	v_lshlrev_b32_e32 v41, 1, v41                              // 000000009D18: 24525281
	v_add_u32_e32 v42, v41, v42                                // 000000009D1C: 68545529
	v_lshlrev_b32_e32 v12, 2, v42                              // 000000009D20: 24185482
	v_lshrrev_b32_e32 v41, 5, v0                               // 000000009D24: 20520085
	v_lshlrev_b32_e32 v42, 5, v41                              // 000000009D28: 24545285
	v_and_b32_e32 v41, 31, v0                                  // 000000009D2C: 2652009F
	v_lshrrev_b32_e32 v43, 4, v41                              // 000000009D30: 20565284
	v_add_u32_e32 v42, v43, v42                                // 000000009D34: 6854552B
	v_and_b32_e32 v41, 15, v0                                  // 000000009D38: 2652008F
	v_lshlrev_b32_e32 v41, 1, v41                              // 000000009D3C: 24525281
	v_add_u32_e32 v42, v41, v42                                // 000000009D40: 68545529
	v_lshlrev_b32_e32 v41, 2, v42                              // 000000009D44: 24525482
	s_mul_i32 s60, 0x100, s7                                   // 000000009D48: 923C07FF 00000100
	v_add_u32_e64 v13, v41, s60                                // 000000009D50: D134000D 00007929
	v_lshlrev_b32_e32 v6, 4, v0                                // 000000009D58: 240C0084
	s_mul_i32 s60, s2, s69                                     // 000000009D5C: 923C4502
	s_add_u32 s16, s60, s16                                    // 000000009D60: 8010103C
	s_addc_u32 s17, 0, s17                                     // 000000009D64: 82111180
	v_and_b32_e32 v41, 15, v0                                  // 000000009D68: 2652008F
	v_lshlrev_b32_e32 v7, 4, v41                               // 000000009D6C: 240E5284
	s_mul_i32 s61, s2, s69                                     // 000000009D70: 923D4502
	s_mul_i32 s60, s7, 0x100                                   // 000000009D74: 923CFF07 00000100
	s_add_u32 s60, s60, s61                                    // 000000009D7C: 803C3D3C
	s_add_u32 s20, s60, s20                                    // 000000009D80: 8014143C
	s_addc_u32 s21, 0, s21                                     // 000000009D84: 82151580
	s_waitcnt vmcnt(4)                                         // 000000009D88: BF8C0F74
	v_mul_u32_u24_dpp v41, v19, v68 row_newbcast:0 row_mask:0xf bank_mask:0xf// 000000009D8C: 105288FA FF015013
	v_mul_u32_u24_dpp v42, v19, v68 row_newbcast:4 row_mask:0xf bank_mask:0xf// 000000009D94: 105488FA FF015413
	v_mul_u32_u24_dpp v43, v19, v68 row_newbcast:8 row_mask:0xf bank_mask:0xf// 000000009D9C: 105688FA FF015813
	v_mul_u32_u24_dpp v44, v19, v68 row_newbcast:12 row_mask:0xf bank_mask:0xf// 000000009DA4: 105888FA FF015C13
	v_add_u32_e32 v25, v41, v6                                 // 000000009DAC: 68320D29
	v_add_u32_e32 v26, v42, v6                                 // 000000009DB0: 68340D2A
	v_add_u32_e32 v27, v43, v6                                 // 000000009DB4: 68360D2B
	v_add_u32_e32 v28, v44, v6                                 // 000000009DB8: 68380D2C
	v_mul_u32_u24_dpp v41, v19, v68 row_newbcast:1 row_mask:0xf bank_mask:0xf// 000000009DBC: 105288FA FF015113
	v_mul_u32_u24_dpp v42, v19, v68 row_newbcast:5 row_mask:0xf bank_mask:0xf// 000000009DC4: 105488FA FF015513
	v_mul_u32_u24_dpp v43, v19, v68 row_newbcast:9 row_mask:0xf bank_mask:0xf// 000000009DCC: 105688FA FF015913
	v_mul_u32_u24_dpp v44, v19, v68 row_newbcast:13 row_mask:0xf bank_mask:0xf// 000000009DD4: 105888FA FF015D13
	v_add_u32_e32 v33, v41, v7                                 // 000000009DDC: 68420F29
	v_add_u32_e32 v34, v42, v7                                 // 000000009DE0: 68440F2A
	v_add_u32_e32 v35, v43, v7                                 // 000000009DE4: 68460F2B
	v_add_u32_e32 v36, v44, v7                                 // 000000009DE8: 68480F2C
	v_mul_u32_u24_dpp v41, v19, v78 quad_perm:[0,0,0,0] row_mask:0xf bank_mask:0xf// 000000009DEC: 10529CFA FF000013
	v_add_u32_e32 v2, v41, v74                                 // 000000009DF4: 68049529
	v_mul_u32_u24_dpp v41, v19, v78 quad_perm:[0,0,0,0] row_mask:0xf bank_mask:0xf// 000000009DF8: 10529CFA FF000013
	v_add_u32_e32 v70, v41, v75                                // 000000009E00: 688C9729
	buffer_load_dword v52, v2, s[32:35], 0 offen               // 000000009E04: E0501000 80083402
	buffer_load_dwordx4 a[0:3], v25, s[16:19], 0 offen         // 000000009E0C: E05C1000 80840019
	buffer_load_dwordx4 a[4:7], v25, s[16:19], 0 offen offset:1024// 000000009E14: E05C1400 80840419
	buffer_load_dwordx4 a[8:11], v26, s[16:19], 0 offen        // 000000009E1C: E05C1000 8084081A
	buffer_load_dwordx4 a[12:15], v26, s[16:19], 0 offen offset:1024// 000000009E24: E05C1400 80840C1A
	buffer_load_dwordx4 a[16:19], v27, s[16:19], 0 offen       // 000000009E2C: E05C1000 8084101B
	buffer_load_dwordx4 a[20:23], v27, s[16:19], 0 offen offset:1024// 000000009E34: E05C1400 8084141B
	buffer_load_dwordx4 a[24:27], v28, s[16:19], 0 offen       // 000000009E3C: E05C1000 8084181C
	buffer_load_dwordx4 a[28:31], v28, s[16:19], 0 offen offset:1024// 000000009E44: E05C1400 80841C1C
	buffer_load_dword v72, v70, s[36:39], 0 offen              // 000000009E4C: E0501000 80094846
	buffer_load_dwordx4 a[64:67], v33, s[20:23], 0 offen       // 000000009E54: E05C1000 80854021
	buffer_load_dwordx4 a[68:71], v34, s[20:23], 0 offen       // 000000009E5C: E05C1000 80854422
	buffer_load_dwordx4 a[72:75], v35, s[20:23], 0 offen       // 000000009E64: E05C1000 80854823
	buffer_load_dwordx4 a[76:79], v36, s[20:23], 0 offen       // 000000009E6C: E05C1000 80854C24
	buffer_load_dwordx4 a[80:83], v33, s[20:23], 0 offen offset:1024// 000000009E74: E05C1400 80855021
	buffer_load_dwordx4 a[84:87], v34, s[20:23], 0 offen offset:1024// 000000009E7C: E05C1400 80855422
	buffer_load_dwordx4 a[88:91], v35, s[20:23], 0 offen offset:1024// 000000009E84: E05C1400 80855823
	buffer_load_dwordx4 a[92:95], v36, s[20:23], 0 offen offset:1024// 000000009E8C: E05C1400 80855C24
	v_lshrrev_b32_e32 v41, 4, v0                               // 000000009E94: 20520084
	v_lshlrev_b32_e32 v42, 1, v41                              // 000000009E98: 24545281
	v_and_b32_e32 v41, 15, v0                                  // 000000009E9C: 2652008F
	v_mul_i32_i24_e32 v41, 0x42, v41                           // 000000009EA0: 0C5252FF 00000042
	v_add_u32_e32 v42, v41, v42                                // 000000009EA8: 68545529
	v_lshlrev_b32_e32 v4, 2, v42                               // 000000009EAC: 24085482
	s_mul_i32 s60, s7, 32                                      // 000000009EB0: 923CA007
	v_add_u32_e32 v4, s60, v4                                  // 000000009EB4: 6808083C
	s_waitcnt vmcnt(16) lgkmcnt(0)                             // 000000009EB8: BF8C4070
	s_barrier                                                  // 000000009EBC: BF8A0000
	ds_read_b64 v[96:97], v4                                   // 000000009EC0: D8EC0000 60000004
	ds_read_b64 v[100:101], v4 offset:128                      // 000000009EC8: D8EC0080 64000004
	s_waitcnt lgkmcnt(0)                                       // 000000009ED0: BF8CC07F
	v_and_b32_e32 v41, 0xffff, v96                             // 000000009ED4: 2652C0FF 0000FFFF
	v_lshrrev_b32_e32 v42, 16, v96                             // 000000009EDC: 2054C090
	v_and_b32_e32 v43, 0xffff, v97                             // 000000009EE0: 2656C2FF 0000FFFF
	v_lshrrev_b32_e32 v44, 16, v97                             // 000000009EE8: 2058C290
	v_cvt_f32_f16_e32 v96, v41                                 // 000000009EEC: 7EC01729
	v_cvt_f32_f16_e32 v97, v42                                 // 000000009EF0: 7EC2172A
	v_cvt_f32_f16_e32 v98, v43                                 // 000000009EF4: 7EC4172B
	v_cvt_f32_f16_e32 v99, v44                                 // 000000009EF8: 7EC6172C
	v_and_b32_e32 v41, 0xffff, v100                            // 000000009EFC: 2652C8FF 0000FFFF
	v_lshrrev_b32_e32 v42, 16, v100                            // 000000009F04: 2054C890
	v_and_b32_e32 v43, 0xffff, v101                            // 000000009F08: 2656CAFF 0000FFFF
	v_lshrrev_b32_e32 v44, 16, v101                            // 000000009F10: 2058CA90
	v_cvt_f32_f16_e32 v100, v41                                // 000000009F14: 7EC81729
	v_cvt_f32_f16_e32 v101, v42                                // 000000009F18: 7ECA172A
	v_cvt_f32_f16_e32 v102, v43                                // 000000009F1C: 7ECC172B
	v_cvt_f32_f16_e32 v103, v44                                // 000000009F20: 7ECE172C
	v_mov_b32_e32 v62, 0x358637bd                              // 000000009F24: 7E7C02FF 358637BD
	v_max3_f32 v62, |v96|, |v97|, v62                          // 000000009F2C: D1D3033E 04FAC360
	v_max3_f32 v62, |v98|, |v99|, v62                          // 000000009F34: D1D3033E 04FAC762
	v_max3_f32 v62, |v100|, |v101|, v62                        // 000000009F3C: D1D3033E 04FACB64
	v_max3_f32 v62, |v102|, |v103|, v62                        // 000000009F44: D1D3033E 04FACF66
	ds_write_b32 v11, v62 offset:16896                         // 000000009F4C: D81A4200 00003E0B
	s_waitcnt lgkmcnt(0)                                       // 000000009F54: BF8CC07F
	s_barrier                                                  // 000000009F58: BF8A0000
	ds_read_b32 v80, v10 offset:16896                          // 000000009F5C: D86C4200 5000000A
	ds_read_b32 v81, v10 offset:16960                          // 000000009F64: D86C4240 5100000A
	ds_read_b32 v82, v10 offset:17024                          // 000000009F6C: D86C4280 5200000A
	ds_read_b32 v83, v10 offset:17088                          // 000000009F74: D86C42C0 5300000A
	ds_read_b32 v84, v10 offset:17152                          // 000000009F7C: D86C4300 5400000A
	ds_read_b32 v85, v10 offset:17216                          // 000000009F84: D86C4340 5500000A
	ds_read_b32 v86, v10 offset:17280                          // 000000009F8C: D86C4380 5600000A
	ds_read_b32 v87, v10 offset:17344                          // 000000009F94: D86C43C0 5700000A
	ds_read_b32 v88, v10 offset:17408                          // 000000009F9C: D86C4400 5800000A
	ds_read_b32 v89, v10 offset:17472                          // 000000009FA4: D86C4440 5900000A
	ds_read_b32 v90, v10 offset:17536                          // 000000009FAC: D86C4480 5A00000A
	ds_read_b32 v91, v10 offset:17600                          // 000000009FB4: D86C44C0 5B00000A
	ds_read_b32 v92, v10 offset:17664                          // 000000009FBC: D86C4500 5C00000A
	ds_read_b32 v93, v10 offset:17728                          // 000000009FC4: D86C4540 5D00000A
	ds_read_b32 v94, v10 offset:17792                          // 000000009FCC: D86C4580 5E00000A
	ds_read_b32 v95, v10 offset:17856                          // 000000009FD4: D86C45C0 5F00000A
	s_waitcnt lgkmcnt(0)                                       // 000000009FDC: BF8CC07F
	v_max3_f32 v62, |v80|, |v81|, v62                          // 000000009FE0: D1D3033E 04FAA350
	v_max3_f32 v62, |v82|, |v83|, v62                          // 000000009FE8: D1D3033E 04FAA752
	v_max3_f32 v62, |v84|, |v85|, v62                          // 000000009FF0: D1D3033E 04FAAB54
	v_max3_f32 v62, |v86|, |v87|, v62                          // 000000009FF8: D1D3033E 04FAAF56
	v_max3_f32 v62, |v88|, |v89|, v62                          // 00000000A000: D1D3033E 04FAB358
	v_max3_f32 v62, |v90|, |v91|, v62                          // 00000000A008: D1D3033E 04FAB75A
	v_max3_f32 v62, |v92|, |v93|, v62                          // 00000000A010: D1D3033E 04FABB5C
	v_max3_f32 v62, |v94|, |v95|, v62                          // 00000000A018: D1D3033E 04FABF5E
	v_rcp_f32_e32 v62, v62                                     // 00000000A020: 7E7C453E
	s_nop 1                                                    // 00000000A024: BF800001
	v_mul_f32_e32 v62, 0x43700000, v62                         // 00000000A028: 0A7C7CFF 43700000
	v_mul_f32_e32 v96, v62, v96                                // 00000000A030: 0AC0C13E
	v_mul_f32_e32 v97, v62, v97                                // 00000000A034: 0AC2C33E
	v_mul_f32_e32 v98, v62, v98                                // 00000000A038: 0AC4C53E
	v_mul_f32_e32 v99, v62, v99                                // 00000000A03C: 0AC6C73E
	v_mul_f32_e32 v100, v62, v100                              // 00000000A040: 0AC8C93E
	v_mul_f32_e32 v101, v62, v101                              // 00000000A044: 0ACACB3E
	v_mul_f32_e32 v102, v62, v102                              // 00000000A048: 0ACCCD3E
	v_mul_f32_e32 v103, v62, v103                              // 00000000A04C: 0ACECF3E
	v_rcp_f32_e32 v54, v62                                     // 00000000A050: 7E6C453E
	v_cvt_pk_fp8_f32 v96, v96, v97                             // 00000000A054: D2A20060 0002C360
	v_cvt_pk_fp8_f32 v96, v98, v99 op_sel:[0,0,1]              // 00000000A05C: D2A24060 0002C762
	v_cvt_pk_fp8_f32 v97, v100, v101                           // 00000000A064: D2A20061 0002CB64
	v_cvt_pk_fp8_f32 v97, v102, v103 op_sel:[0,0,1]            // 00000000A06C: D2A24061 0002CF66
	ds_write_b32 v13, v96 offset:25088                         // 00000000A074: D81A6200 0000600D
	ds_write_b32 v13, v97 offset:26112                         // 00000000A07C: D81A6600 0000610D
	s_waitcnt lgkmcnt(0)                                       // 00000000A084: BF8CC07F
	s_barrier                                                  // 00000000A088: BF8A0000
	ds_read_b64 v[96:97], v12 offset:25088                     // 00000000A08C: D8EC6200 6000000C
	ds_read_b64 v[98:99], v12 offset:25216                     // 00000000A094: D8EC6280 6200000C
	ds_read_b64 v[100:101], v12 offset:26112                   // 00000000A09C: D8EC6600 6400000C
	ds_read_b64 v[102:103], v12 offset:26240                   // 00000000A0A4: D8EC6680 6600000C
	v_mov_b32_e32 v224, 0                                      // 00000000A0AC: 7FC00280
	v_mov_b32_e32 v225, 0                                      // 00000000A0B0: 7FC20280
	v_mov_b32_e32 v226, 0                                      // 00000000A0B4: 7FC40280
	v_mov_b32_e32 v227, 0                                      // 00000000A0B8: 7FC60280
	v_mov_b32_e32 v228, 0                                      // 00000000A0BC: 7FC80280
	v_mov_b32_e32 v229, 0                                      // 00000000A0C0: 7FCA0280
	v_mov_b32_e32 v230, 0                                      // 00000000A0C4: 7FCC0280
	v_mov_b32_e32 v231, 0                                      // 00000000A0C8: 7FCE0280
	v_mov_b32_e32 v192, 0                                      // 00000000A0CC: 7F800280
	v_mov_b32_e32 v193, 0                                      // 00000000A0D0: 7F820280
	v_mov_b32_e32 v194, 0                                      // 00000000A0D4: 7F840280
	v_mov_b32_e32 v195, 0                                      // 00000000A0D8: 7F860280
	v_mov_b32_e32 v196, 0                                      // 00000000A0DC: 7F880280
	v_mov_b32_e32 v197, 0                                      // 00000000A0E0: 7F8A0280
	v_mov_b32_e32 v198, 0                                      // 00000000A0E4: 7F8C0280
	v_mov_b32_e32 v199, 0                                      // 00000000A0E8: 7F8E0280
	ds_read_b64 v[104:105], v4 offset:4224                     // 00000000A0EC: D8EC1080 68000004
	ds_read_b64 v[108:109], v4 offset:4352                     // 00000000A0F4: D8EC1100 6C000004
	s_waitcnt lgkmcnt(0)                                       // 00000000A0FC: BF8CC07F
	v_and_b32_e32 v41, 0xffff, v104                            // 00000000A100: 2652D0FF 0000FFFF
	v_lshrrev_b32_e32 v42, 16, v104                            // 00000000A108: 2054D090
	v_and_b32_e32 v43, 0xffff, v105                            // 00000000A10C: 2656D2FF 0000FFFF
	v_lshrrev_b32_e32 v44, 16, v105                            // 00000000A114: 2058D290
	v_cvt_f32_f16_e32 v104, v41                                // 00000000A118: 7ED01729
	v_cvt_f32_f16_e32 v105, v42                                // 00000000A11C: 7ED2172A
	v_cvt_f32_f16_e32 v106, v43                                // 00000000A120: 7ED4172B
	v_cvt_f32_f16_e32 v107, v44                                // 00000000A124: 7ED6172C
	v_and_b32_e32 v41, 0xffff, v108                            // 00000000A128: 2652D8FF 0000FFFF
	v_lshrrev_b32_e32 v42, 16, v108                            // 00000000A130: 2054D890
	v_and_b32_e32 v43, 0xffff, v109                            // 00000000A134: 2656DAFF 0000FFFF
	v_lshrrev_b32_e32 v44, 16, v109                            // 00000000A13C: 2058DA90
	v_cvt_f32_f16_e32 v108, v41                                // 00000000A140: 7ED81729
	v_cvt_f32_f16_e32 v109, v42                                // 00000000A144: 7EDA172A
	v_cvt_f32_f16_e32 v110, v43                                // 00000000A148: 7EDC172B
	v_cvt_f32_f16_e32 v111, v44                                // 00000000A14C: 7EDE172C
	v_mov_b32_e32 v62, 0x358637bd                              // 00000000A150: 7E7C02FF 358637BD
	v_max3_f32 v62, |v104|, |v105|, v62                        // 00000000A158: D1D3033E 04FAD368
	v_max3_f32 v62, |v106|, |v107|, v62                        // 00000000A160: D1D3033E 04FAD76A
	v_max3_f32 v62, |v108|, |v109|, v62                        // 00000000A168: D1D3033E 04FADB6C
	v_max3_f32 v62, |v110|, |v111|, v62                        // 00000000A170: D1D3033E 04FADF6E
	ds_write_b32 v11, v62 offset:16896                         // 00000000A178: D81A4200 00003E0B
	s_waitcnt lgkmcnt(0)                                       // 00000000A180: BF8CC07F
	s_barrier                                                  // 00000000A184: BF8A0000
	ds_read_b32 v80, v10 offset:16896                          // 00000000A188: D86C4200 5000000A
	ds_read_b32 v81, v10 offset:16960                          // 00000000A190: D86C4240 5100000A
	ds_read_b32 v82, v10 offset:17024                          // 00000000A198: D86C4280 5200000A
	ds_read_b32 v83, v10 offset:17088                          // 00000000A1A0: D86C42C0 5300000A
	ds_read_b32 v84, v10 offset:17152                          // 00000000A1A8: D86C4300 5400000A
	ds_read_b32 v85, v10 offset:17216                          // 00000000A1B0: D86C4340 5500000A
	ds_read_b32 v86, v10 offset:17280                          // 00000000A1B8: D86C4380 5600000A
	ds_read_b32 v87, v10 offset:17344                          // 00000000A1C0: D86C43C0 5700000A
	ds_read_b32 v88, v10 offset:17408                          // 00000000A1C8: D86C4400 5800000A
	ds_read_b32 v89, v10 offset:17472                          // 00000000A1D0: D86C4440 5900000A
	ds_read_b32 v90, v10 offset:17536                          // 00000000A1D8: D86C4480 5A00000A
	ds_read_b32 v91, v10 offset:17600                          // 00000000A1E0: D86C44C0 5B00000A
	ds_read_b32 v92, v10 offset:17664                          // 00000000A1E8: D86C4500 5C00000A
	ds_read_b32 v93, v10 offset:17728                          // 00000000A1F0: D86C4540 5D00000A
	ds_read_b32 v94, v10 offset:17792                          // 00000000A1F8: D86C4580 5E00000A
	ds_read_b32 v95, v10 offset:17856                          // 00000000A200: D86C45C0 5F00000A
	s_waitcnt lgkmcnt(0)                                       // 00000000A208: BF8CC07F
	v_max3_f32 v62, |v80|, |v81|, v62                          // 00000000A20C: D1D3033E 04FAA350
	v_max3_f32 v62, |v82|, |v83|, v62                          // 00000000A214: D1D3033E 04FAA752
	v_max3_f32 v62, |v84|, |v85|, v62                          // 00000000A21C: D1D3033E 04FAAB54
	v_max3_f32 v62, |v86|, |v87|, v62                          // 00000000A224: D1D3033E 04FAAF56
	v_max3_f32 v62, |v88|, |v89|, v62                          // 00000000A22C: D1D3033E 04FAB358
	v_max3_f32 v62, |v90|, |v91|, v62                          // 00000000A234: D1D3033E 04FAB75A
	v_max3_f32 v62, |v92|, |v93|, v62                          // 00000000A23C: D1D3033E 04FABB5C
	v_max3_f32 v62, |v94|, |v95|, v62                          // 00000000A244: D1D3033E 04FABF5E
	v_rcp_f32_e32 v62, v62                                     // 00000000A24C: 7E7C453E
	s_nop 1                                                    // 00000000A250: BF800001
	v_mul_f32_e32 v62, 0x43700000, v62                         // 00000000A254: 0A7C7CFF 43700000
	v_mul_f32_e32 v104, v62, v104                              // 00000000A25C: 0AD0D13E
	v_mul_f32_e32 v105, v62, v105                              // 00000000A260: 0AD2D33E
	v_mul_f32_e32 v106, v62, v106                              // 00000000A264: 0AD4D53E
	v_mul_f32_e32 v107, v62, v107                              // 00000000A268: 0AD6D73E
	v_mul_f32_e32 v108, v62, v108                              // 00000000A26C: 0AD8D93E
	v_mul_f32_e32 v109, v62, v109                              // 00000000A270: 0ADADB3E
	v_mul_f32_e32 v110, v62, v110                              // 00000000A274: 0ADCDD3E
	v_mul_f32_e32 v111, v62, v111                              // 00000000A278: 0ADEDF3E
	v_rcp_f32_e32 v55, v62                                     // 00000000A27C: 7E6E453E
	v_cvt_pk_fp8_f32 v104, v104, v105                          // 00000000A280: D2A20068 0002D368
	v_cvt_pk_fp8_f32 v104, v106, v107 op_sel:[0,0,1]           // 00000000A288: D2A24068 0002D76A
	v_cvt_pk_fp8_f32 v105, v108, v109                          // 00000000A290: D2A20069 0002DB6C
	v_cvt_pk_fp8_f32 v105, v110, v111 op_sel:[0,0,1]           // 00000000A298: D2A24069 0002DF6E
	ds_write_b32 v13, v104 offset:25088                        // 00000000A2A0: D81A6200 0000680D
	ds_write_b32 v13, v105 offset:26112                        // 00000000A2A8: D81A6600 0000690D
	s_waitcnt lgkmcnt(0)                                       // 00000000A2B0: BF8CC07F
	s_barrier                                                  // 00000000A2B4: BF8A0000
	ds_read_b64 v[104:105], v12 offset:25088                   // 00000000A2B8: D8EC6200 6800000C
	ds_read_b64 v[106:107], v12 offset:25216                   // 00000000A2C0: D8EC6280 6A00000C
	ds_read_b64 v[108:109], v12 offset:26112                   // 00000000A2C8: D8EC6600 6C00000C
	ds_read_b64 v[110:111], v12 offset:26240                   // 00000000A2D0: D8EC6680 6E00000C
	v_mov_b32_e32 v232, 0                                      // 00000000A2D8: 7FD00280
	v_mov_b32_e32 v233, 0                                      // 00000000A2DC: 7FD20280
	v_mov_b32_e32 v234, 0                                      // 00000000A2E0: 7FD40280
	v_mov_b32_e32 v235, 0                                      // 00000000A2E4: 7FD60280
	v_mov_b32_e32 v236, 0                                      // 00000000A2E8: 7FD80280
	v_mov_b32_e32 v237, 0                                      // 00000000A2EC: 7FDA0280
	v_mov_b32_e32 v238, 0                                      // 00000000A2F0: 7FDC0280
	v_mov_b32_e32 v239, 0                                      // 00000000A2F4: 7FDE0280
	v_mov_b32_e32 v200, 0                                      // 00000000A2F8: 7F900280
	v_mov_b32_e32 v201, 0                                      // 00000000A2FC: 7F920280
	v_mov_b32_e32 v202, 0                                      // 00000000A300: 7F940280
	v_mov_b32_e32 v203, 0                                      // 00000000A304: 7F960280
	v_mov_b32_e32 v204, 0                                      // 00000000A308: 7F980280
	v_mov_b32_e32 v205, 0                                      // 00000000A30C: 7F9A0280
	v_mov_b32_e32 v206, 0                                      // 00000000A310: 7F9C0280
	v_mov_b32_e32 v207, 0                                      // 00000000A314: 7F9E0280
	s_waitcnt vmcnt(8) lgkmcnt(0)                              // 00000000A318: BF8C0078
	s_barrier                                                  // 00000000A31C: BF8A0000
	s_cmp_lt_u32 s73, 16                                       // 00000000A320: BF0A9049
	s_cbranch_scc1 label_3149                                  // 00000000A324: BF8510FF
	s_cmp_lt_i32 s7, 2                                         // 00000000A328: BF048207
	s_cbranch_scc0 label_28CC                                  // 00000000A32C: BF840880

000000000000a330 <label_204C>:
	s_waitcnt vmcnt(8) lgkmcnt(0)                              // 00000000A330: BF8C0078
	v_mul_u32_u24_dpp v41, v20, v68 row_newbcast:0 row_mask:0xf bank_mask:0xf// 00000000A334: 105288FA FF015014
	v_mul_u32_u24_dpp v42, v20, v68 row_newbcast:4 row_mask:0xf bank_mask:0xf// 00000000A33C: 105488FA FF015414
	v_mul_u32_u24_dpp v43, v20, v68 row_newbcast:8 row_mask:0xf bank_mask:0xf// 00000000A344: 105688FA FF015814
	v_mul_u32_u24_dpp v44, v20, v68 row_newbcast:12 row_mask:0xf bank_mask:0xf// 00000000A34C: 105888FA FF015C14
	v_add_u32_e32 v29, v41, v6                                 // 00000000A354: 683A0D29
	v_add_u32_e32 v30, v42, v6                                 // 00000000A358: 683C0D2A
	v_add_u32_e32 v31, v43, v6                                 // 00000000A35C: 683E0D2B
	v_add_u32_e32 v32, v44, v6                                 // 00000000A360: 68400D2C
	v_mul_u32_u24_dpp v41, v20, v78 quad_perm:[0,0,0,0] row_mask:0xf bank_mask:0xf// 00000000A364: 10529CFA FF000014
	v_add_u32_e32 v3, v41, v74                                 // 00000000A36C: 68069529
	v_mul_u32_u24_dpp v41, v20, v78 quad_perm:[0,0,0,0] row_mask:0xf bank_mask:0xf// 00000000A370: 10529CFA FF000014
	v_add_u32_e32 v71, v41, v75                                // 00000000A378: 688E9729
	v_mfma_f32_16x16x32_fp8_fp8 v[128:131], a[0:1], v[96:97], 0// 00000000A37C: D3F30080 0A02C100
	v_mfma_f32_16x16x32_fp8_fp8 v[128:131], a[2:3], v[98:99], v[128:131]// 00000000A384: D3F30080 0E02C502
	buffer_load_dwordx4 a[32:35], v29, s[16:19], 0 offen       // 00000000A38C: E05C1000 8084201D
	v_mfma_f32_16x16x32_fp8_fp8 v[128:131], a[4:5], v[100:101], v[128:131]// 00000000A394: D3F30080 0E02C904
	v_mfma_f32_16x16x32_fp8_fp8 v[128:131], a[6:7], v[102:103], v[128:131]// 00000000A39C: D3F30080 0E02CD06
	buffer_load_dword v19, v1, s[24:27], 0 offen               // 00000000A3A4: E0501000 80061301
	v_mfma_f32_16x16x32_fp8_fp8 v[132:135], a[8:9], v[96:97], 0// 00000000A3AC: D3F30084 0A02C108
	v_mfma_f32_16x16x32_fp8_fp8 v[132:135], a[10:11], v[98:99], v[132:135]// 00000000A3B4: D3F30084 0E12C50A
	buffer_load_dwordx4 a[36:39], v29, s[16:19], 0 offen offset:1024// 00000000A3BC: E05C1400 8084241D
	v_mfma_f32_16x16x32_fp8_fp8 v[132:135], a[12:13], v[100:101], v[132:135]// 00000000A3C4: D3F30084 0E12C90C
	v_mfma_f32_16x16x32_fp8_fp8 v[132:135], a[14:15], v[102:103], v[132:135]// 00000000A3CC: D3F30084 0E12CD0E
	v_mfma_f32_16x16x32_fp8_fp8 v[136:139], a[16:17], v[96:97], 0// 00000000A3D4: D3F30088 0A02C110
	v_mfma_f32_16x16x32_fp8_fp8 v[136:139], a[18:19], v[98:99], v[136:139]// 00000000A3DC: D3F30088 0E22C512
	buffer_load_dwordx4 a[40:43], v30, s[16:19], 0 offen       // 00000000A3E4: E05C1000 8084281E
	v_mfma_f32_16x16x32_fp8_fp8 v[136:139], a[20:21], v[100:101], v[136:139]// 00000000A3EC: D3F30088 0E22C914
	v_mfma_f32_16x16x32_fp8_fp8 v[136:139], a[22:23], v[102:103], v[136:139]// 00000000A3F4: D3F30088 0E22CD16
	v_mfma_f32_16x16x32_fp8_fp8 v[140:143], a[24:25], v[96:97], 0// 00000000A3FC: D3F3008C 0A02C118
	v_mfma_f32_16x16x32_fp8_fp8 v[140:143], a[26:27], v[98:99], v[140:143]// 00000000A404: D3F3008C 0E32C51A
	buffer_load_dwordx4 a[44:47], v30, s[16:19], 0 offen offset:1024// 00000000A40C: E05C1400 80842C1E
	v_mfma_f32_16x16x32_fp8_fp8 v[140:143], a[28:29], v[100:101], v[140:143]// 00000000A414: D3F3008C 0E32C91C
	v_mfma_f32_16x16x32_fp8_fp8 v[140:143], a[30:31], v[102:103], v[140:143]// 00000000A41C: D3F3008C 0E32CD1E
	v_mfma_f32_16x16x32_fp8_fp8 v[144:147], a[0:1], v[104:105], 0// 00000000A424: D3F30090 0A02D100
	v_mfma_f32_16x16x32_fp8_fp8 v[144:147], a[2:3], v[106:107], v[144:147]// 00000000A42C: D3F30090 0E42D502
	v_mfma_f32_16x16x32_fp8_fp8 v[144:147], a[4:5], v[108:109], v[144:147]// 00000000A434: D3F30090 0E42D904
	v_mfma_f32_16x16x32_fp8_fp8 v[144:147], a[6:7], v[110:111], v[144:147]// 00000000A43C: D3F30090 0E42DD06
	v_mfma_f32_16x16x32_fp8_fp8 v[148:151], a[8:9], v[104:105], 0// 00000000A444: D3F30094 0A02D108
	v_mfma_f32_16x16x32_fp8_fp8 v[148:151], a[10:11], v[106:107], v[148:151]// 00000000A44C: D3F30094 0E52D50A
	v_mfma_f32_16x16x32_fp8_fp8 v[148:151], a[12:13], v[108:109], v[148:151]// 00000000A454: D3F30094 0E52D90C
	v_mfma_f32_16x16x32_fp8_fp8 v[148:151], a[14:15], v[110:111], v[148:151]// 00000000A45C: D3F30094 0E52DD0E
	v_mfma_f32_16x16x32_fp8_fp8 v[152:155], a[16:17], v[104:105], 0// 00000000A464: D3F30098 0A02D110
	v_mfma_f32_16x16x32_fp8_fp8 v[152:155], a[18:19], v[106:107], v[152:155]// 00000000A46C: D3F30098 0E62D512
	v_mfma_f32_16x16x32_fp8_fp8 v[152:155], a[20:21], v[108:109], v[152:155]// 00000000A474: D3F30098 0E62D914
	v_mfma_f32_16x16x32_fp8_fp8 v[152:155], a[22:23], v[110:111], v[152:155]// 00000000A47C: D3F30098 0E62DD16
	v_mfma_f32_16x16x32_fp8_fp8 v[156:159], a[24:25], v[104:105], 0// 00000000A484: D3F3009C 0A02D118
	v_mfma_f32_16x16x32_fp8_fp8 v[156:159], a[26:27], v[106:107], v[156:159]// 00000000A48C: D3F3009C 0E72D51A
	v_mfma_f32_16x16x32_fp8_fp8 v[156:159], a[28:29], v[108:109], v[156:159]// 00000000A494: D3F3009C 0E72D91C
	v_mfma_f32_16x16x32_fp8_fp8 v[156:159], a[30:31], v[110:111], v[156:159]// 00000000A49C: D3F3009C 0E72DD1E
	buffer_load_dword v53, v3, s[32:35], 0 offen               // 00000000A4A4: E0501000 80083503
	v_mov_b32_dpp v41, v52 row_shr:4 row_mask:0xf bank_mask:0xf// 00000000A4AC: 7E5202FA FF011434
	v_mov_b32_dpp v42, v52 row_shl:4 row_mask:0xf bank_mask:0xf// 00000000A4B4: 7E5402FA FF010434
	v_cndmask_b32_e64 v248, v52, v41, s[44:45]                 // 00000000A4BC: D10000F8 00B25334
	v_cndmask_b32_e64 v249, v42, v52, s[44:45]                 // 00000000A4C4: D10000F9 00B2692A
	v_mov_b32_dpp v41, v248 row_shr:8 row_mask:0xf bank_mask:0xf// 00000000A4CC: 7E5202FA FF0118F8
	v_mov_b32_dpp v42, v248 row_shl:8 row_mask:0xf bank_mask:0xf// 00000000A4D4: 7E5402FA FF0108F8
	v_mov_b32_dpp v43, v249 row_shr:8 row_mask:0xf bank_mask:0xf// 00000000A4DC: 7E5602FA FF0118F9
	v_mov_b32_dpp v44, v249 row_shl:8 row_mask:0xf bank_mask:0xf// 00000000A4E4: 7E5802FA FF0108F9
	v_mov_b32_e32 v45, v248                                    // 00000000A4EC: 7E5A03F8
	v_mov_b32_e32 v46, v249                                    // 00000000A4F0: 7E5C03F9
	v_cndmask_b32_e64 v248, v45, v41, s[42:43]                 // 00000000A4F4: D10000F8 00AA532D
	v_cndmask_b32_e64 v250, v45, v42, s[78:79]                 // 00000000A4FC: D10000FA 013A552D
	v_cndmask_b32_e64 v249, v46, v43, s[42:43]                 // 00000000A504: D10000F9 00AA572E
	v_cndmask_b32_e64 v251, v46, v44, s[78:79]                 // 00000000A50C: D10000FB 013A592E
	v_mov_b32_dpp v41, v72 row_shr:4 row_mask:0xf bank_mask:0xf// 00000000A514: 7E5202FA FF011448
	v_mov_b32_dpp v42, v72 row_shl:4 row_mask:0xf bank_mask:0xf// 00000000A51C: 7E5402FA FF010448
	v_cndmask_b32_e64 v252, v72, v41, s[44:45]                 // 00000000A524: D10000FC 00B25348
	v_cndmask_b32_e64 v253, v42, v72, s[44:45]                 // 00000000A52C: D10000FD 00B2912A
	v_mov_b32_dpp v41, v252 row_shr:8 row_mask:0xf bank_mask:0xf// 00000000A534: 7E5202FA FF0118FC
	v_mov_b32_dpp v42, v252 row_shl:8 row_mask:0xf bank_mask:0xf// 00000000A53C: 7E5402FA FF0108FC
	v_mov_b32_dpp v43, v253 row_shr:8 row_mask:0xf bank_mask:0xf// 00000000A544: 7E5602FA FF0118FD
	v_mov_b32_dpp v44, v253 row_shl:8 row_mask:0xf bank_mask:0xf// 00000000A54C: 7E5802FA FF0108FD
	v_mov_b32_e32 v45, v252                                    // 00000000A554: 7E5A03FC
	v_mov_b32_e32 v46, v253                                    // 00000000A558: 7E5C03FD
	v_cndmask_b32_e64 v252, v45, v41, s[42:43]                 // 00000000A55C: D10000FC 00AA532D
	v_cndmask_b32_e64 v254, v45, v42, s[78:79]                 // 00000000A564: D10000FE 013A552D
	v_cndmask_b32_e64 v253, v46, v43, s[42:43]                 // 00000000A56C: D10000FD 00AA572E
	v_cndmask_b32_e64 v255, v46, v44, s[78:79]                 // 00000000A574: D10000FF 013A592E
	buffer_load_dword v73, v71, s[36:39], 0 offen              // 00000000A57C: E0501000 80094947
	v_mul_f32_e32 v128, v54, v128                              // 00000000A584: 0B010136
	v_mul_f32_e32 v129, v54, v129                              // 00000000A588: 0B030336
	v_mul_f32_e32 v130, v54, v130                              // 00000000A58C: 0B050536
	v_mul_f32_e32 v131, v54, v131                              // 00000000A590: 0B070736
	v_mul_f32_e32 v132, v54, v132                              // 00000000A594: 0B090936
	v_mul_f32_e32 v133, v54, v133                              // 00000000A598: 0B0B0B36
	v_mul_f32_e32 v134, v54, v134                              // 00000000A59C: 0B0D0D36
	v_mul_f32_e32 v135, v54, v135                              // 00000000A5A0: 0B0F0F36
	v_mul_f32_e32 v136, v54, v136                              // 00000000A5A4: 0B111136
	v_mul_f32_e32 v137, v54, v137                              // 00000000A5A8: 0B131336
	v_mul_f32_e32 v138, v54, v138                              // 00000000A5AC: 0B151536
	v_mul_f32_e32 v139, v54, v139                              // 00000000A5B0: 0B171736
	v_mul_f32_e32 v140, v54, v140                              // 00000000A5B4: 0B191936
	v_mul_f32_e32 v141, v54, v141                              // 00000000A5B8: 0B1B1B36
	v_mul_f32_e32 v142, v54, v142                              // 00000000A5BC: 0B1D1D36
	v_mul_f32_e32 v143, v54, v143                              // 00000000A5C0: 0B1F1F36
	buffer_load_dwordx4 a[48:51], v31, s[16:19], 0 offen       // 00000000A5C4: E05C1000 8084301F
	v_mul_f32_dpp v128, v248, v128 quad_perm:[0,0,0,0] row_mask:0xf bank_mask:0xf// 00000000A5CC: 0B0100FA FF0000F8
	v_mul_f32_dpp v129, v248, v129 quad_perm:[1,1,1,1] row_mask:0xf bank_mask:0xf// 00000000A5D4: 0B0302FA FF0055F8
	v_mul_f32_dpp v130, v248, v130 quad_perm:[2,2,2,2] row_mask:0xf bank_mask:0xf// 00000000A5DC: 0B0504FA FF00AAF8
	v_mul_f32_dpp v131, v248, v131 quad_perm:[3,3,3,3] row_mask:0xf bank_mask:0xf// 00000000A5E4: 0B0706FA FF00FFF8
	v_mul_f32_dpp v132, v249, v132 quad_perm:[0,0,0,0] row_mask:0xf bank_mask:0xf// 00000000A5EC: 0B0908FA FF0000F9
	v_mul_f32_dpp v133, v249, v133 quad_perm:[1,1,1,1] row_mask:0xf bank_mask:0xf// 00000000A5F4: 0B0B0AFA FF0055F9
	v_mul_f32_dpp v134, v249, v134 quad_perm:[2,2,2,2] row_mask:0xf bank_mask:0xf// 00000000A5FC: 0B0D0CFA FF00AAF9
	v_mul_f32_dpp v135, v249, v135 quad_perm:[3,3,3,3] row_mask:0xf bank_mask:0xf// 00000000A604: 0B0F0EFA FF00FFF9
	v_mul_f32_dpp v136, v250, v136 quad_perm:[0,0,0,0] row_mask:0xf bank_mask:0xf// 00000000A60C: 0B1110FA FF0000FA
	v_mul_f32_dpp v137, v250, v137 quad_perm:[1,1,1,1] row_mask:0xf bank_mask:0xf// 00000000A614: 0B1312FA FF0055FA
	v_mul_f32_dpp v138, v250, v138 quad_perm:[2,2,2,2] row_mask:0xf bank_mask:0xf// 00000000A61C: 0B1514FA FF00AAFA
	v_mul_f32_dpp v139, v250, v139 quad_perm:[3,3,3,3] row_mask:0xf bank_mask:0xf// 00000000A624: 0B1716FA FF00FFFA
	v_mul_f32_dpp v140, v251, v140 quad_perm:[0,0,0,0] row_mask:0xf bank_mask:0xf// 00000000A62C: 0B1918FA FF0000FB
	v_mul_f32_dpp v141, v251, v141 quad_perm:[1,1,1,1] row_mask:0xf bank_mask:0xf// 00000000A634: 0B1B1AFA FF0055FB
	v_mul_f32_dpp v142, v251, v142 quad_perm:[2,2,2,2] row_mask:0xf bank_mask:0xf// 00000000A63C: 0B1D1CFA FF00AAFB
	v_mul_f32_dpp v143, v251, v143 quad_perm:[3,3,3,3] row_mask:0xf bank_mask:0xf// 00000000A644: 0B1F1EFA FF00FFFB
	buffer_load_dwordx4 a[52:55], v31, s[16:19], 0 offen offset:1024// 00000000A64C: E05C1400 8084341F
	v_mov_b32_e32 v62, v128                                    // 00000000A654: 7E7C0380
	v_max3_f32 v62, v128, v129, v62                            // 00000000A658: D1D3003E 04FB0380
	v_max3_f32 v62, v130, v131, v62                            // 00000000A660: D1D3003E 04FB0782
	v_max3_f32 v62, v132, v133, v62                            // 00000000A668: D1D3003E 04FB0B84
	v_max3_f32 v62, v134, v135, v62                            // 00000000A670: D1D3003E 04FB0F86
	v_max3_f32 v62, v136, v137, v62                            // 00000000A678: D1D3003E 04FB1388
	v_max3_f32 v62, v138, v139, v62                            // 00000000A680: D1D3003E 04FB178A
	v_max3_f32 v62, v140, v141, v62                            // 00000000A688: D1D3003E 04FB1B8C
	v_max3_f32 v62, v142, v143, v62                            // 00000000A690: D1D3003E 04FB1F8E
	ds_write_b32 v11, v62 offset:16896                         // 00000000A698: D81A4200 00003E0B
	buffer_load_dwordx4 a[56:59], v32, s[16:19], 0 offen       // 00000000A6A0: E05C1000 80843820
	v_mul_u32_u24_dpp v41, v20, v68 row_newbcast:1 row_mask:0xf bank_mask:0xf// 00000000A6A8: 105288FA FF015114
	v_mul_u32_u24_dpp v42, v20, v68 row_newbcast:5 row_mask:0xf bank_mask:0xf// 00000000A6B0: 105488FA FF015514
	v_mul_u32_u24_dpp v43, v20, v68 row_newbcast:9 row_mask:0xf bank_mask:0xf// 00000000A6B8: 105688FA FF015914
	v_mul_u32_u24_dpp v44, v20, v68 row_newbcast:13 row_mask:0xf bank_mask:0xf// 00000000A6C0: 105888FA FF015D14
	v_add_u32_e32 v37, v41, v7                                 // 00000000A6C8: 684A0F29
	v_add_u32_e32 v38, v42, v7                                 // 00000000A6CC: 684C0F2A
	v_add_u32_e32 v39, v43, v7                                 // 00000000A6D0: 684E0F2B
	v_add_u32_e32 v40, v44, v7                                 // 00000000A6D4: 68500F2C
	v_mul_f32_e32 v224, v63, v224                              // 00000000A6D8: 0BC1C13F
	v_mul_f32_e32 v225, v63, v225                              // 00000000A6DC: 0BC3C33F
	v_mul_f32_e32 v226, v63, v226                              // 00000000A6E0: 0BC5C53F
	v_mul_f32_e32 v227, v63, v227                              // 00000000A6E4: 0BC7C73F
	v_mul_f32_e32 v228, v63, v228                              // 00000000A6E8: 0BC9C93F
	v_mul_f32_e32 v229, v63, v229                              // 00000000A6EC: 0BCBCB3F
	v_mul_f32_e32 v230, v63, v230                              // 00000000A6F0: 0BCDCD3F
	v_mul_f32_e32 v231, v63, v231                              // 00000000A6F4: 0BCFCF3F
	s_waitcnt lgkmcnt(0)                                       // 00000000A6F8: BF8CC07F
	s_barrier                                                  // 00000000A6FC: BF8A0000
	ds_read_b32 v80, v10 offset:16896                          // 00000000A700: D86C4200 5000000A
	ds_read_b32 v81, v10 offset:16960                          // 00000000A708: D86C4240 5100000A
	ds_read_b32 v82, v10 offset:17024                          // 00000000A710: D86C4280 5200000A
	ds_read_b32 v83, v10 offset:17088                          // 00000000A718: D86C42C0 5300000A
	ds_read_b32 v84, v10 offset:17152                          // 00000000A720: D86C4300 5400000A
	ds_read_b32 v85, v10 offset:17216                          // 00000000A728: D86C4340 5500000A
	ds_read_b32 v86, v10 offset:17280                          // 00000000A730: D86C4380 5600000A
	ds_read_b32 v87, v10 offset:17344                          // 00000000A738: D86C43C0 5700000A
	ds_read_b32 v88, v10 offset:17408                          // 00000000A740: D86C4400 5800000A
	ds_read_b32 v89, v10 offset:17472                          // 00000000A748: D86C4440 5900000A
	ds_read_b32 v90, v10 offset:17536                          // 00000000A750: D86C4480 5A00000A
	ds_read_b32 v91, v10 offset:17600                          // 00000000A758: D86C44C0 5B00000A
	ds_read_b32 v92, v10 offset:17664                          // 00000000A760: D86C4500 5C00000A
	ds_read_b32 v93, v10 offset:17728                          // 00000000A768: D86C4540 5D00000A
	ds_read_b32 v94, v10 offset:17792                          // 00000000A770: D86C4580 5E00000A
	ds_read_b32 v95, v10 offset:17856                          // 00000000A778: D86C45C0 5F00000A
	buffer_load_dwordx4 a[60:63], v32, s[16:19], 0 offen offset:1024// 00000000A780: E05C1400 80843C20
	v_mul_f32_e32 v192, v58, v192                              // 00000000A788: 0B81813A
	v_mul_f32_e32 v193, v58, v193                              // 00000000A78C: 0B83833A
	v_mul_f32_e32 v194, v58, v194                              // 00000000A790: 0B85853A
	v_mul_f32_e32 v195, v58, v195                              // 00000000A794: 0B87873A
	v_mul_f32_e32 v196, v58, v196                              // 00000000A798: 0B89893A
	v_mul_f32_e32 v197, v58, v197                              // 00000000A79C: 0B8B8B3A
	v_mul_f32_e32 v198, v58, v198                              // 00000000A7A0: 0B8D8D3A
	v_mul_f32_e32 v199, v58, v199                              // 00000000A7A4: 0B8F8F3A
	s_waitcnt lgkmcnt(0)                                       // 00000000A7A8: BF8CC07F
	v_max3_f32 v62, v80, v81, v62                              // 00000000A7AC: D1D3003E 04FAA350
	v_max3_f32 v62, v82, v83, v62                              // 00000000A7B4: D1D3003E 04FAA752
	v_max3_f32 v62, v84, v85, v62                              // 00000000A7BC: D1D3003E 04FAAB54
	v_max3_f32 v62, v86, v87, v62                              // 00000000A7C4: D1D3003E 04FAAF56
	v_max3_f32 v62, v88, v89, v62                              // 00000000A7CC: D1D3003E 04FAB358
	v_max3_f32 v62, v90, v91, v62                              // 00000000A7D4: D1D3003E 04FAB75A
	v_max3_f32 v62, v92, v93, v62                              // 00000000A7DC: D1D3003E 04FABB5C
	v_max3_f32 v62, v94, v95, v62                              // 00000000A7E4: D1D3003E 04FABF5E
	buffer_load_dwordx4 a[96:99], v37, s[20:23], 0 offen       // 00000000A7EC: E05C1000 80856025
	v_mov_b32_e32 v41, 0xff800000                              // 00000000A7F4: 7E5202FF FF800000
	v_cmp_eq_u32_e64 s[40:41], v41, v14                        // 00000000A7FC: D0CA0028 00021D29
	s_nop 1                                                    // 00000000A804: BF800001
	v_max_f32_e32 v18, v62, v14                                // 00000000A808: 16241D3E
	v_mul_f32_e32 v67, s64, v18                                // 00000000A80C: 0A862440
	v_fma_f32 v128, v128, s64, -v67                            // 00000000A810: D1CB0080 850C8180
	v_fma_f32 v129, v129, s64, -v67                            // 00000000A818: D1CB0081 850C8181
	v_fma_f32 v130, v130, s64, -v67                            // 00000000A820: D1CB0082 850C8182
	v_fma_f32 v131, v131, s64, -v67                            // 00000000A828: D1CB0083 850C8183
	v_fma_f32 v132, v132, s64, -v67                            // 00000000A830: D1CB0084 850C8184
	v_fma_f32 v133, v133, s64, -v67                            // 00000000A838: D1CB0085 850C8185
	v_fma_f32 v134, v134, s64, -v67                            // 00000000A840: D1CB0086 850C8186
	v_fma_f32 v135, v135, s64, -v67                            // 00000000A848: D1CB0087 850C8187
	v_fma_f32 v136, v136, s64, -v67                            // 00000000A850: D1CB0088 850C8188
	v_fma_f32 v137, v137, s64, -v67                            // 00000000A858: D1CB0089 850C8189
	v_fma_f32 v138, v138, s64, -v67                            // 00000000A860: D1CB008A 850C818A
	v_fma_f32 v139, v139, s64, -v67                            // 00000000A868: D1CB008B 850C818B
	v_fma_f32 v140, v140, s64, -v67                            // 00000000A870: D1CB008C 850C818C
	v_fma_f32 v141, v141, s64, -v67                            // 00000000A878: D1CB008D 850C818D
	v_fma_f32 v142, v142, s64, -v67                            // 00000000A880: D1CB008E 850C818E
	v_fma_f32 v143, v143, s64, -v67                            // 00000000A888: D1CB008F 850C818F
	buffer_load_dwordx4 a[100:103], v38, s[20:23], 0 offen     // 00000000A890: E05C1000 80856426
	v_exp_f32_e32 v128, v128                                   // 00000000A898: 7F004180
	v_exp_f32_e32 v129, v129                                   // 00000000A89C: 7F024181
	v_exp_f32_e32 v130, v130                                   // 00000000A8A0: 7F044182
	v_exp_f32_e32 v131, v131                                   // 00000000A8A4: 7F064183
	v_exp_f32_e32 v132, v132                                   // 00000000A8A8: 7F084184
	v_exp_f32_e32 v133, v133                                   // 00000000A8AC: 7F0A4185
	v_exp_f32_e32 v134, v134                                   // 00000000A8B0: 7F0C4186
	v_exp_f32_e32 v135, v135                                   // 00000000A8B4: 7F0E4187
	v_exp_f32_e32 v136, v136                                   // 00000000A8B8: 7F104188
	v_exp_f32_e32 v137, v137                                   // 00000000A8BC: 7F124189
	v_exp_f32_e32 v138, v138                                   // 00000000A8C0: 7F14418A
	v_exp_f32_e32 v139, v139                                   // 00000000A8C4: 7F16418B
	v_exp_f32_e32 v140, v140                                   // 00000000A8C8: 7F18418C
	v_exp_f32_e32 v141, v141                                   // 00000000A8CC: 7F1A418D
	v_exp_f32_e32 v142, v142                                   // 00000000A8D0: 7F1C418E
	v_exp_f32_e32 v143, v143                                   // 00000000A8D4: 7F1E418F
	buffer_load_dwordx4 a[104:107], v39, s[20:23], 0 offen     // 00000000A8D8: E05C1000 80856827
	v_mul_f32_dpp v240, v252, v128 quad_perm:[0,0,0,0] row_mask:0xf bank_mask:0xf// 00000000A8E0: 0BE100FA FF0000FC
	v_mul_f32_dpp v241, v252, v129 quad_perm:[1,1,1,1] row_mask:0xf bank_mask:0xf// 00000000A8E8: 0BE302FA FF0055FC
	v_mul_f32_dpp v242, v252, v130 quad_perm:[2,2,2,2] row_mask:0xf bank_mask:0xf// 00000000A8F0: 0BE504FA FF00AAFC
	v_mul_f32_dpp v243, v252, v131 quad_perm:[3,3,3,3] row_mask:0xf bank_mask:0xf// 00000000A8F8: 0BE706FA FF00FFFC
	v_mul_f32_dpp v244, v253, v132 quad_perm:[0,0,0,0] row_mask:0xf bank_mask:0xf// 00000000A900: 0BE908FA FF0000FD
	v_mul_f32_dpp v245, v253, v133 quad_perm:[1,1,1,1] row_mask:0xf bank_mask:0xf// 00000000A908: 0BEB0AFA FF0055FD
	v_mul_f32_dpp v246, v253, v134 quad_perm:[2,2,2,2] row_mask:0xf bank_mask:0xf// 00000000A910: 0BED0CFA FF00AAFD
	v_mul_f32_dpp v247, v253, v135 quad_perm:[3,3,3,3] row_mask:0xf bank_mask:0xf// 00000000A918: 0BEF0EFA FF00FFFD
	v_mul_f32_dpp v248, v254, v136 quad_perm:[0,0,0,0] row_mask:0xf bank_mask:0xf// 00000000A920: 0BF110FA FF0000FE
	v_mul_f32_dpp v249, v254, v137 quad_perm:[1,1,1,1] row_mask:0xf bank_mask:0xf// 00000000A928: 0BF312FA FF0055FE
	v_mul_f32_dpp v250, v254, v138 quad_perm:[2,2,2,2] row_mask:0xf bank_mask:0xf// 00000000A930: 0BF514FA FF00AAFE
	v_mul_f32_dpp v251, v254, v139 quad_perm:[3,3,3,3] row_mask:0xf bank_mask:0xf// 00000000A938: 0BF716FA FF00FFFE
	v_mul_f32_dpp v252, v255, v140 quad_perm:[0,0,0,0] row_mask:0xf bank_mask:0xf// 00000000A940: 0BF918FA FF0000FF
	v_mul_f32_dpp v253, v255, v141 quad_perm:[1,1,1,1] row_mask:0xf bank_mask:0xf// 00000000A948: 0BFB1AFA FF0055FF
	v_mul_f32_dpp v254, v255, v142 quad_perm:[2,2,2,2] row_mask:0xf bank_mask:0xf// 00000000A950: 0BFD1CFA FF00AAFF
	v_mul_f32_dpp v255, v255, v143 quad_perm:[3,3,3,3] row_mask:0xf bank_mask:0xf// 00000000A958: 0BFF1EFA FF00FFFF
	v_mov_b32_e32 v62, 0x358637bd                              // 00000000A960: 7E7C02FF 358637BD
	v_max3_f32 v62, |v240|, |v241|, v62                        // 00000000A968: D1D3033E 04FBE3F0
	v_max3_f32 v62, |v242|, |v243|, v62                        // 00000000A970: D1D3033E 04FBE7F2
	v_max3_f32 v62, |v244|, |v245|, v62                        // 00000000A978: D1D3033E 04FBEBF4
	v_max3_f32 v62, |v246|, |v247|, v62                        // 00000000A980: D1D3033E 04FBEFF6
	v_max3_f32 v62, |v248|, |v249|, v62                        // 00000000A988: D1D3033E 04FBF3F8
	v_max3_f32 v62, |v250|, |v251|, v62                        // 00000000A990: D1D3033E 04FBF7FA
	v_max3_f32 v62, |v252|, |v253|, v62                        // 00000000A998: D1D3033E 04FBFBFC
	v_max3_f32 v62, |v254|, |v255|, v62                        // 00000000A9A0: D1D3033E 04FBFFFE
	buffer_load_dwordx4 a[108:111], v40, s[20:23], 0 offen     // 00000000A9A8: E05C1000 80856C28
	ds_write_b32 v11, v62 offset:20992                         // 00000000A9B0: D81A5200 00003E0B
	v_sub_f32_e32 v63, v14, v18                                // 00000000A9B8: 047E250E
	v_cndmask_b32_e64 v63, v63, 0, s[40:41]                    // 00000000A9BC: D100003F 00A1013F
	v_mov_b32_e32 v14, v18                                     // 00000000A9C4: 7E1C0312
	v_mul_f32_e32 v63, s64, v63                                // 00000000A9C8: 0A7E7E40
	v_exp_f32_e32 v63, v63                                     // 00000000A9CC: 7E7E413F
	s_waitcnt lgkmcnt(0)                                       // 00000000A9D0: BF8CC07F
	s_barrier                                                  // 00000000A9D4: BF8A0000
	ds_read_b32 v80, v10 offset:20992                          // 00000000A9D8: D86C5200 5000000A
	ds_read_b32 v81, v10 offset:21056                          // 00000000A9E0: D86C5240 5100000A
	ds_read_b32 v82, v10 offset:21120                          // 00000000A9E8: D86C5280 5200000A
	ds_read_b32 v83, v10 offset:21184                          // 00000000A9F0: D86C52C0 5300000A
	ds_read_b32 v84, v10 offset:21248                          // 00000000A9F8: D86C5300 5400000A
	ds_read_b32 v85, v10 offset:21312                          // 00000000AA00: D86C5340 5500000A
	ds_read_b32 v86, v10 offset:21376                          // 00000000AA08: D86C5380 5600000A
	ds_read_b32 v87, v10 offset:21440                          // 00000000AA10: D86C53C0 5700000A
	ds_read_b32 v88, v10 offset:21504                          // 00000000AA18: D86C5400 5800000A
	ds_read_b32 v89, v10 offset:21568                          // 00000000AA20: D86C5440 5900000A
	ds_read_b32 v90, v10 offset:21632                          // 00000000AA28: D86C5480 5A00000A
	ds_read_b32 v91, v10 offset:21696                          // 00000000AA30: D86C54C0 5B00000A
	ds_read_b32 v92, v10 offset:21760                          // 00000000AA38: D86C5500 5C00000A
	ds_read_b32 v93, v10 offset:21824                          // 00000000AA40: D86C5540 5D00000A
	ds_read_b32 v94, v10 offset:21888                          // 00000000AA48: D86C5580 5E00000A
	ds_read_b32 v95, v10 offset:21952                          // 00000000AA50: D86C55C0 5F00000A
	v_mul_f32_e32 v47, v63, v47                                // 00000000AA58: 0A5E5F3F
	v_mov_b32_e32 v18, v128                                    // 00000000AA5C: 7E240380
	v_add_f32_e32 v18, v129, v18                               // 00000000AA60: 02242581
	v_add_f32_e32 v18, v130, v18                               // 00000000AA64: 02242582
	v_add_f32_e32 v18, v131, v18                               // 00000000AA68: 02242583
	v_add_f32_e32 v18, v132, v18                               // 00000000AA6C: 02242584
	v_add_f32_e32 v18, v133, v18                               // 00000000AA70: 02242585
	v_add_f32_e32 v18, v134, v18                               // 00000000AA74: 02242586
	v_add_f32_e32 v18, v135, v18                               // 00000000AA78: 02242587
	v_add_f32_e32 v18, v136, v18                               // 00000000AA7C: 02242588
	v_add_f32_e32 v18, v137, v18                               // 00000000AA80: 02242589
	v_add_f32_e32 v18, v138, v18                               // 00000000AA84: 0224258A
	v_add_f32_e32 v18, v139, v18                               // 00000000AA88: 0224258B
	v_add_f32_e32 v18, v140, v18                               // 00000000AA8C: 0224258C
	v_add_f32_e32 v18, v141, v18                               // 00000000AA90: 0224258D
	v_add_f32_e32 v18, v142, v18                               // 00000000AA94: 0224258E
	v_add_f32_e32 v18, v143, v18                               // 00000000AA98: 0224258F
	v_add_f32_e32 v47, v18, v47                                // 00000000AA9C: 025E5F12
	s_waitcnt lgkmcnt(0)                                       // 00000000AAA0: BF8CC07F
	v_max3_f32 v62, |v80|, |v81|, v62                          // 00000000AAA4: D1D3033E 04FAA350
	v_max3_f32 v62, |v82|, |v83|, v62                          // 00000000AAAC: D1D3033E 04FAA752
	v_max3_f32 v62, |v84|, |v85|, v62                          // 00000000AAB4: D1D3033E 04FAAB54
	v_max3_f32 v62, |v86|, |v87|, v62                          // 00000000AABC: D1D3033E 04FAAF56
	v_max3_f32 v62, |v88|, |v89|, v62                          // 00000000AAC4: D1D3033E 04FAB358
	v_max3_f32 v62, |v90|, |v91|, v62                          // 00000000AACC: D1D3033E 04FAB75A
	v_max3_f32 v62, |v92|, |v93|, v62                          // 00000000AAD4: D1D3033E 04FABB5C
	v_max3_f32 v62, |v94|, |v95|, v62                          // 00000000AADC: D1D3033E 04FABF5E
	s_nop 2                                                    // 00000000AAE4: BF800002
	v_rcp_f32_e32 v62, v62                                     // 00000000AAE8: 7E7C453E
	s_nop 1                                                    // 00000000AAEC: BF800001
	v_mul_f32_e32 v62, 0x43700000, v62                         // 00000000AAF0: 0A7C7CFF 43700000
	v_mul_f32_e32 v128, v62, v240                              // 00000000AAF8: 0B01E13E
	v_mul_f32_e32 v129, v62, v241                              // 00000000AAFC: 0B03E33E
	v_mul_f32_e32 v130, v62, v242                              // 00000000AB00: 0B05E53E
	v_mul_f32_e32 v131, v62, v243                              // 00000000AB04: 0B07E73E
	v_mul_f32_e32 v132, v62, v244                              // 00000000AB08: 0B09E93E
	v_mul_f32_e32 v133, v62, v245                              // 00000000AB0C: 0B0BEB3E
	v_mul_f32_e32 v134, v62, v246                              // 00000000AB10: 0B0DED3E
	v_mul_f32_e32 v135, v62, v247                              // 00000000AB14: 0B0FEF3E
	v_mul_f32_e32 v136, v62, v248                              // 00000000AB18: 0B11F13E
	v_mul_f32_e32 v137, v62, v249                              // 00000000AB1C: 0B13F33E
	v_mul_f32_e32 v138, v62, v250                              // 00000000AB20: 0B15F53E
	v_mul_f32_e32 v139, v62, v251                              // 00000000AB24: 0B17F73E
	v_mul_f32_e32 v140, v62, v252                              // 00000000AB28: 0B19F93E
	v_mul_f32_e32 v141, v62, v253                              // 00000000AB2C: 0B1BFB3E
	v_mul_f32_e32 v142, v62, v254                              // 00000000AB30: 0B1DFD3E
	v_mul_f32_e32 v143, v62, v255                              // 00000000AB34: 0B1FFF3E
	v_cvt_pk_fp8_f32 v128, v128, v129                          // 00000000AB38: D2A20080 00030380
	v_cvt_pk_fp8_f32 v128, v130, v131 op_sel:[0,0,1]           // 00000000AB40: D2A24080 00030782
	v_cvt_pk_fp8_f32 v129, v132, v133                          // 00000000AB48: D2A20081 00030B84
	v_cvt_pk_fp8_f32 v129, v134, v135 op_sel:[0,0,1]           // 00000000AB50: D2A24081 00030F86
	v_cvt_pk_fp8_f32 v130, v136, v137                          // 00000000AB58: D2A20082 00031388
	v_cvt_pk_fp8_f32 v130, v138, v139 op_sel:[0,0,1]           // 00000000AB60: D2A24082 0003178A
	v_cvt_pk_fp8_f32 v131, v140, v141                          // 00000000AB68: D2A20083 00031B8C
	v_cvt_pk_fp8_f32 v131, v142, v143 op_sel:[0,0,1]           // 00000000AB70: D2A24083 00031F8E
	ds_write_b32 v13, v128 offset:25088                        // 00000000AB78: D81A6200 0000800D
	ds_write_b32 v13, v129 offset:26112                        // 00000000AB80: D81A6600 0000810D
	ds_write_b32 v13, v130 offset:27136                        // 00000000AB88: D81A6A00 0000820D
	ds_write_b32 v13, v131 offset:28160                        // 00000000AB90: D81A6E00 0000830D
	v_add_f32_e32 v224, v224, v192                             // 00000000AB98: 03C181E0
	v_add_f32_e32 v225, v225, v193                             // 00000000AB9C: 03C383E1
	v_add_f32_e32 v226, v226, v194                             // 00000000ABA0: 03C585E2
	v_add_f32_e32 v227, v227, v195                             // 00000000ABA4: 03C787E3
	v_add_f32_e32 v228, v228, v196                             // 00000000ABA8: 03C989E4
	v_add_f32_e32 v229, v229, v197                             // 00000000ABAC: 03CB8BE5
	v_add_f32_e32 v230, v230, v198                             // 00000000ABB0: 03CD8DE6
	v_add_f32_e32 v231, v231, v199                             // 00000000ABB4: 03CF8FE7
	v_rcp_f32_e32 v58, v62                                     // 00000000ABB8: 7E74453E
	s_waitcnt lgkmcnt(0)                                       // 00000000ABBC: BF8CC07F
	s_barrier                                                  // 00000000ABC0: BF8A0000
	ds_read_b64 v[128:129], v12 offset:25088                   // 00000000ABC4: D8EC6200 8000000C
	ds_read_b64 v[130:131], v12 offset:25216                   // 00000000ABCC: D8EC6280 8200000C
	ds_read_b64 v[132:133], v12 offset:26112                   // 00000000ABD4: D8EC6600 8400000C
	ds_read_b64 v[134:135], v12 offset:26240                   // 00000000ABDC: D8EC6680 8600000C
	ds_read_b64 v[136:137], v12 offset:27136                   // 00000000ABE4: D8EC6A00 8800000C
	ds_read_b64 v[138:139], v12 offset:27264                   // 00000000ABEC: D8EC6A80 8A00000C
	ds_read_b64 v[140:141], v12 offset:28160                   // 00000000ABF4: D8EC6E00 8C00000C
	ds_read_b64 v[142:143], v12 offset:28288                   // 00000000ABFC: D8EC6E80 8E00000C
	v_mov_b32_dpp v41, v52 row_shr:4 row_mask:0xf bank_mask:0xf// 00000000AC04: 7E5202FA FF011434
	v_mov_b32_dpp v42, v52 row_shl:4 row_mask:0xf bank_mask:0xf// 00000000AC0C: 7E5402FA FF010434
	v_cndmask_b32_e64 v248, v52, v41, s[44:45]                 // 00000000AC14: D10000F8 00B25334
	v_cndmask_b32_e64 v249, v42, v52, s[44:45]                 // 00000000AC1C: D10000F9 00B2692A
	v_mov_b32_dpp v41, v248 row_shr:8 row_mask:0xf bank_mask:0xf// 00000000AC24: 7E5202FA FF0118F8
	v_mov_b32_dpp v42, v248 row_shl:8 row_mask:0xf bank_mask:0xf// 00000000AC2C: 7E5402FA FF0108F8
	v_mov_b32_dpp v43, v249 row_shr:8 row_mask:0xf bank_mask:0xf// 00000000AC34: 7E5602FA FF0118F9
	v_mov_b32_dpp v44, v249 row_shl:8 row_mask:0xf bank_mask:0xf// 00000000AC3C: 7E5802FA FF0108F9
	v_mov_b32_e32 v45, v248                                    // 00000000AC44: 7E5A03F8
	v_mov_b32_e32 v46, v249                                    // 00000000AC48: 7E5C03F9
	v_cndmask_b32_e64 v248, v45, v41, s[42:43]                 // 00000000AC4C: D10000F8 00AA532D
	v_cndmask_b32_e64 v250, v45, v42, s[78:79]                 // 00000000AC54: D10000FA 013A552D
	v_cndmask_b32_e64 v249, v46, v43, s[42:43]                 // 00000000AC5C: D10000F9 00AA572E
	v_cndmask_b32_e64 v251, v46, v44, s[78:79]                 // 00000000AC64: D10000FB 013A592E
	v_mov_b32_dpp v41, v72 row_shr:4 row_mask:0xf bank_mask:0xf// 00000000AC6C: 7E5202FA FF011448
	v_mov_b32_dpp v42, v72 row_shl:4 row_mask:0xf bank_mask:0xf// 00000000AC74: 7E5402FA FF010448
	v_cndmask_b32_e64 v252, v72, v41, s[44:45]                 // 00000000AC7C: D10000FC 00B25348
	v_cndmask_b32_e64 v253, v42, v72, s[44:45]                 // 00000000AC84: D10000FD 00B2912A
	v_mov_b32_dpp v41, v252 row_shr:8 row_mask:0xf bank_mask:0xf// 00000000AC8C: 7E5202FA FF0118FC
	v_mov_b32_dpp v42, v252 row_shl:8 row_mask:0xf bank_mask:0xf// 00000000AC94: 7E5402FA FF0108FC
	v_mov_b32_dpp v43, v253 row_shr:8 row_mask:0xf bank_mask:0xf// 00000000AC9C: 7E5602FA FF0118FD
	v_mov_b32_dpp v44, v253 row_shl:8 row_mask:0xf bank_mask:0xf// 00000000ACA4: 7E5802FA FF0108FD
	v_mov_b32_e32 v45, v252                                    // 00000000ACAC: 7E5A03FC
	v_mov_b32_e32 v46, v253                                    // 00000000ACB0: 7E5C03FD
	v_cndmask_b32_e64 v252, v45, v41, s[42:43]                 // 00000000ACB4: D10000FC 00AA532D
	v_cndmask_b32_e64 v254, v45, v42, s[78:79]                 // 00000000ACBC: D10000FE 013A552D
	v_cndmask_b32_e64 v253, v46, v43, s[42:43]                 // 00000000ACC4: D10000FD 00AA572E
	v_cndmask_b32_e64 v255, v46, v44, s[78:79]                 // 00000000ACCC: D10000FF 013A592E
	v_mul_f32_e32 v144, v55, v144                              // 00000000ACD4: 0B212137
	v_mul_f32_e32 v145, v55, v145                              // 00000000ACD8: 0B232337
	v_mul_f32_e32 v146, v55, v146                              // 00000000ACDC: 0B252537
	v_mul_f32_e32 v147, v55, v147                              // 00000000ACE0: 0B272737
	v_mul_f32_e32 v148, v55, v148                              // 00000000ACE4: 0B292937
	v_mul_f32_e32 v149, v55, v149                              // 00000000ACE8: 0B2B2B37
	v_mul_f32_e32 v150, v55, v150                              // 00000000ACEC: 0B2D2D37
	v_mul_f32_e32 v151, v55, v151                              // 00000000ACF0: 0B2F2F37
	v_mul_f32_e32 v152, v55, v152                              // 00000000ACF4: 0B313137
	v_mul_f32_e32 v153, v55, v153                              // 00000000ACF8: 0B333337
	v_mul_f32_e32 v154, v55, v154                              // 00000000ACFC: 0B353537
	v_mul_f32_e32 v155, v55, v155                              // 00000000AD00: 0B373737
	v_mul_f32_e32 v156, v55, v156                              // 00000000AD04: 0B393937
	v_mul_f32_e32 v157, v55, v157                              // 00000000AD08: 0B3B3B37
	v_mul_f32_e32 v158, v55, v158                              // 00000000AD0C: 0B3D3D37
	v_mul_f32_e32 v159, v55, v159                              // 00000000AD10: 0B3F3F37
	v_mul_f32_dpp v144, v248, v144 quad_perm:[0,0,0,0] row_mask:0xf bank_mask:0xf// 00000000AD14: 0B2120FA FF0000F8
	v_mul_f32_dpp v145, v248, v145 quad_perm:[1,1,1,1] row_mask:0xf bank_mask:0xf// 00000000AD1C: 0B2322FA FF0055F8
	v_mul_f32_dpp v146, v248, v146 quad_perm:[2,2,2,2] row_mask:0xf bank_mask:0xf// 00000000AD24: 0B2524FA FF00AAF8
	v_mul_f32_dpp v147, v248, v147 quad_perm:[3,3,3,3] row_mask:0xf bank_mask:0xf// 00000000AD2C: 0B2726FA FF00FFF8
	v_mul_f32_dpp v148, v249, v148 quad_perm:[0,0,0,0] row_mask:0xf bank_mask:0xf// 00000000AD34: 0B2928FA FF0000F9
	v_mul_f32_dpp v149, v249, v149 quad_perm:[1,1,1,1] row_mask:0xf bank_mask:0xf// 00000000AD3C: 0B2B2AFA FF0055F9
	v_mul_f32_dpp v150, v249, v150 quad_perm:[2,2,2,2] row_mask:0xf bank_mask:0xf// 00000000AD44: 0B2D2CFA FF00AAF9
	v_mul_f32_dpp v151, v249, v151 quad_perm:[3,3,3,3] row_mask:0xf bank_mask:0xf// 00000000AD4C: 0B2F2EFA FF00FFF9
	v_mul_f32_dpp v152, v250, v152 quad_perm:[0,0,0,0] row_mask:0xf bank_mask:0xf// 00000000AD54: 0B3130FA FF0000FA
	v_mul_f32_dpp v153, v250, v153 quad_perm:[1,1,1,1] row_mask:0xf bank_mask:0xf// 00000000AD5C: 0B3332FA FF0055FA
	v_mul_f32_dpp v154, v250, v154 quad_perm:[2,2,2,2] row_mask:0xf bank_mask:0xf// 00000000AD64: 0B3534FA FF00AAFA
	v_mul_f32_dpp v155, v250, v155 quad_perm:[3,3,3,3] row_mask:0xf bank_mask:0xf// 00000000AD6C: 0B3736FA FF00FFFA
	v_mul_f32_dpp v156, v251, v156 quad_perm:[0,0,0,0] row_mask:0xf bank_mask:0xf// 00000000AD74: 0B3938FA FF0000FB
	v_mul_f32_dpp v157, v251, v157 quad_perm:[1,1,1,1] row_mask:0xf bank_mask:0xf// 00000000AD7C: 0B3B3AFA FF0055FB
	v_mul_f32_dpp v158, v251, v158 quad_perm:[2,2,2,2] row_mask:0xf bank_mask:0xf// 00000000AD84: 0B3D3CFA FF00AAFB
	v_mul_f32_dpp v159, v251, v159 quad_perm:[3,3,3,3] row_mask:0xf bank_mask:0xf// 00000000AD8C: 0B3F3EFA FF00FFFB
	v_mov_b32_e32 v62, v144                                    // 00000000AD94: 7E7C0390
	v_max3_f32 v62, v144, v145, v62                            // 00000000AD98: D1D3003E 04FB2390
	v_max3_f32 v62, v146, v147, v62                            // 00000000ADA0: D1D3003E 04FB2792
	v_max3_f32 v62, v148, v149, v62                            // 00000000ADA8: D1D3003E 04FB2B94
	v_max3_f32 v62, v150, v151, v62                            // 00000000ADB0: D1D3003E 04FB2F96
	v_max3_f32 v62, v152, v153, v62                            // 00000000ADB8: D1D3003E 04FB3398
	v_max3_f32 v62, v154, v155, v62                            // 00000000ADC0: D1D3003E 04FB379A
	v_max3_f32 v62, v156, v157, v62                            // 00000000ADC8: D1D3003E 04FB3B9C
	v_max3_f32 v62, v158, v159, v62                            // 00000000ADD0: D1D3003E 04FB3F9E
	ds_write_b32 v11, v62 offset:16896                         // 00000000ADD8: D81A4200 00003E0B
	v_mul_f32_e32 v232, v64, v232                              // 00000000ADE0: 0BD1D140
	v_mul_f32_e32 v233, v64, v233                              // 00000000ADE4: 0BD3D340
	v_mul_f32_e32 v234, v64, v234                              // 00000000ADE8: 0BD5D540
	v_mul_f32_e32 v235, v64, v235                              // 00000000ADEC: 0BD7D740
	v_mul_f32_e32 v236, v64, v236                              // 00000000ADF0: 0BD9D940
	v_mul_f32_e32 v237, v64, v237                              // 00000000ADF4: 0BDBDB40
	v_mul_f32_e32 v238, v64, v238                              // 00000000ADF8: 0BDDDD40
	v_mul_f32_e32 v239, v64, v239                              // 00000000ADFC: 0BDFDF40
	s_waitcnt lgkmcnt(0)                                       // 00000000AE00: BF8CC07F
	s_barrier                                                  // 00000000AE04: BF8A0000
	ds_read_b32 v80, v10 offset:16896                          // 00000000AE08: D86C4200 5000000A
	ds_read_b32 v81, v10 offset:16960                          // 00000000AE10: D86C4240 5100000A
	ds_read_b32 v82, v10 offset:17024                          // 00000000AE18: D86C4280 5200000A
	ds_read_b32 v83, v10 offset:17088                          // 00000000AE20: D86C42C0 5300000A
	ds_read_b32 v84, v10 offset:17152                          // 00000000AE28: D86C4300 5400000A
	ds_read_b32 v85, v10 offset:17216                          // 00000000AE30: D86C4340 5500000A
	ds_read_b32 v86, v10 offset:17280                          // 00000000AE38: D86C4380 5600000A
	ds_read_b32 v87, v10 offset:17344                          // 00000000AE40: D86C43C0 5700000A
	ds_read_b32 v88, v10 offset:17408                          // 00000000AE48: D86C4400 5800000A
	ds_read_b32 v89, v10 offset:17472                          // 00000000AE50: D86C4440 5900000A
	ds_read_b32 v90, v10 offset:17536                          // 00000000AE58: D86C4480 5A00000A
	ds_read_b32 v91, v10 offset:17600                          // 00000000AE60: D86C44C0 5B00000A
	ds_read_b32 v92, v10 offset:17664                          // 00000000AE68: D86C4500 5C00000A
	ds_read_b32 v93, v10 offset:17728                          // 00000000AE70: D86C4540 5D00000A
	ds_read_b32 v94, v10 offset:17792                          // 00000000AE78: D86C4580 5E00000A
	ds_read_b32 v95, v10 offset:17856                          // 00000000AE80: D86C45C0 5F00000A
	v_mul_f32_e32 v200, v59, v200                              // 00000000AE88: 0B91913B
	v_mul_f32_e32 v201, v59, v201                              // 00000000AE8C: 0B93933B
	v_mul_f32_e32 v202, v59, v202                              // 00000000AE90: 0B95953B
	v_mul_f32_e32 v203, v59, v203                              // 00000000AE94: 0B97973B
	v_mul_f32_e32 v204, v59, v204                              // 00000000AE98: 0B99993B
	v_mul_f32_e32 v205, v59, v205                              // 00000000AE9C: 0B9B9B3B
	v_mul_f32_e32 v206, v59, v206                              // 00000000AEA0: 0B9D9D3B
	v_mul_f32_e32 v207, v59, v207                              // 00000000AEA4: 0B9F9F3B
	s_waitcnt lgkmcnt(0)                                       // 00000000AEA8: BF8CC07F
	v_max3_f32 v62, v80, v81, v62                              // 00000000AEAC: D1D3003E 04FAA350
	v_max3_f32 v62, v82, v83, v62                              // 00000000AEB4: D1D3003E 04FAA752
	v_max3_f32 v62, v84, v85, v62                              // 00000000AEBC: D1D3003E 04FAAB54
	v_max3_f32 v62, v86, v87, v62                              // 00000000AEC4: D1D3003E 04FAAF56
	v_max3_f32 v62, v88, v89, v62                              // 00000000AECC: D1D3003E 04FAB358
	v_max3_f32 v62, v90, v91, v62                              // 00000000AED4: D1D3003E 04FAB75A
	v_max3_f32 v62, v92, v93, v62                              // 00000000AEDC: D1D3003E 04FABB5C
	v_max3_f32 v62, v94, v95, v62                              // 00000000AEE4: D1D3003E 04FABF5E
	v_mov_b32_e32 v41, 0xff800000                              // 00000000AEEC: 7E5202FF FF800000
	v_cmp_eq_u32_e64 s[40:41], v41, v15                        // 00000000AEF4: D0CA0028 00021F29
	s_nop 1                                                    // 00000000AEFC: BF800001
	v_max_f32_e32 v18, v62, v15                                // 00000000AF00: 16241F3E
	v_mul_f32_e32 v67, s64, v18                                // 00000000AF04: 0A862440
	v_fma_f32 v144, v144, s64, -v67                            // 00000000AF08: D1CB0090 850C8190
	v_fma_f32 v145, v145, s64, -v67                            // 00000000AF10: D1CB0091 850C8191
	v_fma_f32 v146, v146, s64, -v67                            // 00000000AF18: D1CB0092 850C8192
	v_fma_f32 v147, v147, s64, -v67                            // 00000000AF20: D1CB0093 850C8193
	v_fma_f32 v148, v148, s64, -v67                            // 00000000AF28: D1CB0094 850C8194
	v_fma_f32 v149, v149, s64, -v67                            // 00000000AF30: D1CB0095 850C8195
	v_fma_f32 v150, v150, s64, -v67                            // 00000000AF38: D1CB0096 850C8196
	v_fma_f32 v151, v151, s64, -v67                            // 00000000AF40: D1CB0097 850C8197
	v_fma_f32 v152, v152, s64, -v67                            // 00000000AF48: D1CB0098 850C8198
	v_fma_f32 v153, v153, s64, -v67                            // 00000000AF50: D1CB0099 850C8199
	v_fma_f32 v154, v154, s64, -v67                            // 00000000AF58: D1CB009A 850C819A
	v_fma_f32 v155, v155, s64, -v67                            // 00000000AF60: D1CB009B 850C819B
	v_fma_f32 v156, v156, s64, -v67                            // 00000000AF68: D1CB009C 850C819C
	v_fma_f32 v157, v157, s64, -v67                            // 00000000AF70: D1CB009D 850C819D
	v_fma_f32 v158, v158, s64, -v67                            // 00000000AF78: D1CB009E 850C819E
	v_fma_f32 v159, v159, s64, -v67                            // 00000000AF80: D1CB009F 850C819F
	v_exp_f32_e32 v144, v144                                   // 00000000AF88: 7F204190
	v_exp_f32_e32 v145, v145                                   // 00000000AF8C: 7F224191
	v_exp_f32_e32 v146, v146                                   // 00000000AF90: 7F244192
	v_exp_f32_e32 v147, v147                                   // 00000000AF94: 7F264193
	v_exp_f32_e32 v148, v148                                   // 00000000AF98: 7F284194
	v_exp_f32_e32 v149, v149                                   // 00000000AF9C: 7F2A4195
	v_exp_f32_e32 v150, v150                                   // 00000000AFA0: 7F2C4196
	v_exp_f32_e32 v151, v151                                   // 00000000AFA4: 7F2E4197
	v_exp_f32_e32 v152, v152                                   // 00000000AFA8: 7F304198
	v_exp_f32_e32 v153, v153                                   // 00000000AFAC: 7F324199
	v_exp_f32_e32 v154, v154                                   // 00000000AFB0: 7F34419A
	v_exp_f32_e32 v155, v155                                   // 00000000AFB4: 7F36419B
	v_exp_f32_e32 v156, v156                                   // 00000000AFB8: 7F38419C
	v_exp_f32_e32 v157, v157                                   // 00000000AFBC: 7F3A419D
	v_exp_f32_e32 v158, v158                                   // 00000000AFC0: 7F3C419E
	v_exp_f32_e32 v159, v159                                   // 00000000AFC4: 7F3E419F
	v_mul_f32_dpp v240, v252, v144 quad_perm:[0,0,0,0] row_mask:0xf bank_mask:0xf// 00000000AFC8: 0BE120FA FF0000FC
	v_mul_f32_dpp v241, v252, v145 quad_perm:[1,1,1,1] row_mask:0xf bank_mask:0xf// 00000000AFD0: 0BE322FA FF0055FC
	v_mul_f32_dpp v242, v252, v146 quad_perm:[2,2,2,2] row_mask:0xf bank_mask:0xf// 00000000AFD8: 0BE524FA FF00AAFC
	v_mul_f32_dpp v243, v252, v147 quad_perm:[3,3,3,3] row_mask:0xf bank_mask:0xf// 00000000AFE0: 0BE726FA FF00FFFC
	v_mul_f32_dpp v244, v253, v148 quad_perm:[0,0,0,0] row_mask:0xf bank_mask:0xf// 00000000AFE8: 0BE928FA FF0000FD
	v_mul_f32_dpp v245, v253, v149 quad_perm:[1,1,1,1] row_mask:0xf bank_mask:0xf// 00000000AFF0: 0BEB2AFA FF0055FD
	v_mul_f32_dpp v246, v253, v150 quad_perm:[2,2,2,2] row_mask:0xf bank_mask:0xf// 00000000AFF8: 0BED2CFA FF00AAFD
	v_mul_f32_dpp v247, v253, v151 quad_perm:[3,3,3,3] row_mask:0xf bank_mask:0xf// 00000000B000: 0BEF2EFA FF00FFFD
	v_mul_f32_dpp v248, v254, v152 quad_perm:[0,0,0,0] row_mask:0xf bank_mask:0xf// 00000000B008: 0BF130FA FF0000FE
	v_mul_f32_dpp v249, v254, v153 quad_perm:[1,1,1,1] row_mask:0xf bank_mask:0xf// 00000000B010: 0BF332FA FF0055FE
	v_mul_f32_dpp v250, v254, v154 quad_perm:[2,2,2,2] row_mask:0xf bank_mask:0xf// 00000000B018: 0BF534FA FF00AAFE
	v_mul_f32_dpp v251, v254, v155 quad_perm:[3,3,3,3] row_mask:0xf bank_mask:0xf// 00000000B020: 0BF736FA FF00FFFE
	v_mul_f32_dpp v252, v255, v156 quad_perm:[0,0,0,0] row_mask:0xf bank_mask:0xf// 00000000B028: 0BF938FA FF0000FF
	v_mul_f32_dpp v253, v255, v157 quad_perm:[1,1,1,1] row_mask:0xf bank_mask:0xf// 00000000B030: 0BFB3AFA FF0055FF
	v_mul_f32_dpp v254, v255, v158 quad_perm:[2,2,2,2] row_mask:0xf bank_mask:0xf// 00000000B038: 0BFD3CFA FF00AAFF
	v_mul_f32_dpp v255, v255, v159 quad_perm:[3,3,3,3] row_mask:0xf bank_mask:0xf// 00000000B040: 0BFF3EFA FF00FFFF
	v_mov_b32_e32 v62, 0x358637bd                              // 00000000B048: 7E7C02FF 358637BD
	v_max3_f32 v62, |v240|, |v241|, v62                        // 00000000B050: D1D3033E 04FBE3F0
	v_max3_f32 v62, |v242|, |v243|, v62                        // 00000000B058: D1D3033E 04FBE7F2
	v_max3_f32 v62, |v244|, |v245|, v62                        // 00000000B060: D1D3033E 04FBEBF4
	v_max3_f32 v62, |v246|, |v247|, v62                        // 00000000B068: D1D3033E 04FBEFF6
	v_max3_f32 v62, |v248|, |v249|, v62                        // 00000000B070: D1D3033E 04FBF3F8
	v_max3_f32 v62, |v250|, |v251|, v62                        // 00000000B078: D1D3033E 04FBF7FA
	v_max3_f32 v62, |v252|, |v253|, v62                        // 00000000B080: D1D3033E 04FBFBFC
	v_max3_f32 v62, |v254|, |v255|, v62                        // 00000000B088: D1D3033E 04FBFFFE
	ds_write_b32 v11, v62 offset:20992                         // 00000000B090: D81A5200 00003E0B
	v_sub_f32_e32 v64, v15, v18                                // 00000000B098: 0480250F
	v_cndmask_b32_e64 v64, v64, 0, s[40:41]                    // 00000000B09C: D1000040 00A10140
	v_mov_b32_e32 v15, v18                                     // 00000000B0A4: 7E1E0312
	v_mul_f32_e32 v64, s64, v64                                // 00000000B0A8: 0A808040
	v_exp_f32_e32 v64, v64                                     // 00000000B0AC: 7E804140
	s_waitcnt lgkmcnt(0)                                       // 00000000B0B0: BF8CC07F
	s_barrier                                                  // 00000000B0B4: BF8A0000
	ds_read_b32 v80, v10 offset:20992                          // 00000000B0B8: D86C5200 5000000A
	ds_read_b32 v81, v10 offset:21056                          // 00000000B0C0: D86C5240 5100000A
	ds_read_b32 v82, v10 offset:21120                          // 00000000B0C8: D86C5280 5200000A
	ds_read_b32 v83, v10 offset:21184                          // 00000000B0D0: D86C52C0 5300000A
	ds_read_b32 v84, v10 offset:21248                          // 00000000B0D8: D86C5300 5400000A
	ds_read_b32 v85, v10 offset:21312                          // 00000000B0E0: D86C5340 5500000A
	ds_read_b32 v86, v10 offset:21376                          // 00000000B0E8: D86C5380 5600000A
	ds_read_b32 v87, v10 offset:21440                          // 00000000B0F0: D86C53C0 5700000A
	ds_read_b32 v88, v10 offset:21504                          // 00000000B0F8: D86C5400 5800000A
	ds_read_b32 v89, v10 offset:21568                          // 00000000B100: D86C5440 5900000A
	ds_read_b32 v90, v10 offset:21632                          // 00000000B108: D86C5480 5A00000A
	ds_read_b32 v91, v10 offset:21696                          // 00000000B110: D86C54C0 5B00000A
	ds_read_b32 v92, v10 offset:21760                          // 00000000B118: D86C5500 5C00000A
	ds_read_b32 v93, v10 offset:21824                          // 00000000B120: D86C5540 5D00000A
	ds_read_b32 v94, v10 offset:21888                          // 00000000B128: D86C5580 5E00000A
	ds_read_b32 v95, v10 offset:21952                          // 00000000B130: D86C55C0 5F00000A
	v_mul_f32_e32 v48, v64, v48                                // 00000000B138: 0A606140
	v_mov_b32_e32 v18, v144                                    // 00000000B13C: 7E240390
	v_add_f32_e32 v18, v145, v18                               // 00000000B140: 02242591
	v_add_f32_e32 v18, v146, v18                               // 00000000B144: 02242592
	v_add_f32_e32 v18, v147, v18                               // 00000000B148: 02242593
	v_add_f32_e32 v18, v148, v18                               // 00000000B14C: 02242594
	v_add_f32_e32 v18, v149, v18                               // 00000000B150: 02242595
	v_add_f32_e32 v18, v150, v18                               // 00000000B154: 02242596
	v_add_f32_e32 v18, v151, v18                               // 00000000B158: 02242597
	v_add_f32_e32 v18, v152, v18                               // 00000000B15C: 02242598
	v_add_f32_e32 v18, v153, v18                               // 00000000B160: 02242599
	v_add_f32_e32 v18, v154, v18                               // 00000000B164: 0224259A
	v_add_f32_e32 v18, v155, v18                               // 00000000B168: 0224259B
	v_add_f32_e32 v18, v156, v18                               // 00000000B16C: 0224259C
	v_add_f32_e32 v18, v157, v18                               // 00000000B170: 0224259D
	v_add_f32_e32 v18, v158, v18                               // 00000000B174: 0224259E
	v_add_f32_e32 v18, v159, v18                               // 00000000B178: 0224259F
	v_add_f32_e32 v48, v18, v48                                // 00000000B17C: 02606112
	s_waitcnt lgkmcnt(0)                                       // 00000000B180: BF8CC07F
	v_max3_f32 v62, |v80|, |v81|, v62                          // 00000000B184: D1D3033E 04FAA350
	v_max3_f32 v62, |v82|, |v83|, v62                          // 00000000B18C: D1D3033E 04FAA752
	v_max3_f32 v62, |v84|, |v85|, v62                          // 00000000B194: D1D3033E 04FAAB54
	v_max3_f32 v62, |v86|, |v87|, v62                          // 00000000B19C: D1D3033E 04FAAF56
	v_max3_f32 v62, |v88|, |v89|, v62                          // 00000000B1A4: D1D3033E 04FAB358
	v_max3_f32 v62, |v90|, |v91|, v62                          // 00000000B1AC: D1D3033E 04FAB75A
	v_max3_f32 v62, |v92|, |v93|, v62                          // 00000000B1B4: D1D3033E 04FABB5C
	v_max3_f32 v62, |v94|, |v95|, v62                          // 00000000B1BC: D1D3033E 04FABF5E
	s_nop 2                                                    // 00000000B1C4: BF800002
	v_rcp_f32_e32 v62, v62                                     // 00000000B1C8: 7E7C453E
	s_nop 1                                                    // 00000000B1CC: BF800001
	v_mul_f32_e32 v62, 0x43700000, v62                         // 00000000B1D0: 0A7C7CFF 43700000
	v_mul_f32_e32 v144, v62, v240                              // 00000000B1D8: 0B21E13E
	v_mul_f32_e32 v145, v62, v241                              // 00000000B1DC: 0B23E33E
	v_mul_f32_e32 v146, v62, v242                              // 00000000B1E0: 0B25E53E
	v_mul_f32_e32 v147, v62, v243                              // 00000000B1E4: 0B27E73E
	v_mul_f32_e32 v148, v62, v244                              // 00000000B1E8: 0B29E93E
	v_mul_f32_e32 v149, v62, v245                              // 00000000B1EC: 0B2BEB3E
	v_mul_f32_e32 v150, v62, v246                              // 00000000B1F0: 0B2DED3E
	v_mul_f32_e32 v151, v62, v247                              // 00000000B1F4: 0B2FEF3E
	v_mul_f32_e32 v152, v62, v248                              // 00000000B1F8: 0B31F13E
	v_mul_f32_e32 v153, v62, v249                              // 00000000B1FC: 0B33F33E
	v_mul_f32_e32 v154, v62, v250                              // 00000000B200: 0B35F53E
	v_mul_f32_e32 v155, v62, v251                              // 00000000B204: 0B37F73E
	v_mul_f32_e32 v156, v62, v252                              // 00000000B208: 0B39F93E
	v_mul_f32_e32 v157, v62, v253                              // 00000000B20C: 0B3BFB3E
	v_mul_f32_e32 v158, v62, v254                              // 00000000B210: 0B3DFD3E
	v_mul_f32_e32 v159, v62, v255                              // 00000000B214: 0B3FFF3E
	v_cvt_pk_fp8_f32 v144, v144, v145                          // 00000000B218: D2A20090 00032390
	v_cvt_pk_fp8_f32 v144, v146, v147 op_sel:[0,0,1]           // 00000000B220: D2A24090 00032792
	v_cvt_pk_fp8_f32 v145, v148, v149                          // 00000000B228: D2A20091 00032B94
	v_cvt_pk_fp8_f32 v145, v150, v151 op_sel:[0,0,1]           // 00000000B230: D2A24091 00032F96
	v_cvt_pk_fp8_f32 v146, v152, v153                          // 00000000B238: D2A20092 00033398
	v_cvt_pk_fp8_f32 v146, v154, v155 op_sel:[0,0,1]           // 00000000B240: D2A24092 0003379A
	v_cvt_pk_fp8_f32 v147, v156, v157                          // 00000000B248: D2A20093 00033B9C
	v_cvt_pk_fp8_f32 v147, v158, v159 op_sel:[0,0,1]           // 00000000B250: D2A24093 00033F9E
	ds_write_b32 v13, v144 offset:29184                        // 00000000B258: D81A7200 0000900D
	ds_write_b32 v13, v145 offset:30208                        // 00000000B260: D81A7600 0000910D
	ds_write_b32 v13, v146 offset:31232                        // 00000000B268: D81A7A00 0000920D
	ds_write_b32 v13, v147 offset:32256                        // 00000000B270: D81A7E00 0000930D
	v_add_f32_e32 v232, v232, v200                             // 00000000B278: 03D191E8
	v_add_f32_e32 v233, v233, v201                             // 00000000B27C: 03D393E9
	v_add_f32_e32 v234, v234, v202                             // 00000000B280: 03D595EA
	v_add_f32_e32 v235, v235, v203                             // 00000000B284: 03D797EB
	v_add_f32_e32 v236, v236, v204                             // 00000000B288: 03D999EC
	v_add_f32_e32 v237, v237, v205                             // 00000000B28C: 03DB9BED
	v_add_f32_e32 v238, v238, v206                             // 00000000B290: 03DD9DEE
	v_add_f32_e32 v239, v239, v207                             // 00000000B294: 03DF9FEF
	v_rcp_f32_e32 v59, v62                                     // 00000000B298: 7E76453E
	s_waitcnt lgkmcnt(0)                                       // 00000000B29C: BF8CC07F
	s_barrier                                                  // 00000000B2A0: BF8A0000
	ds_read_b64 v[144:145], v12 offset:29184                   // 00000000B2A4: D8EC7200 9000000C
	ds_read_b64 v[146:147], v12 offset:29312                   // 00000000B2AC: D8EC7280 9200000C
	ds_read_b64 v[148:149], v12 offset:30208                   // 00000000B2B4: D8EC7600 9400000C
	ds_read_b64 v[150:151], v12 offset:30336                   // 00000000B2BC: D8EC7680 9600000C
	ds_read_b64 v[152:153], v12 offset:31232                   // 00000000B2C4: D8EC7A00 9800000C
	ds_read_b64 v[154:155], v12 offset:31360                   // 00000000B2CC: D8EC7A80 9A00000C
	ds_read_b64 v[156:157], v12 offset:32256                   // 00000000B2D4: D8EC7E00 9C00000C
	ds_read_b64 v[158:159], v12 offset:32384                   // 00000000B2DC: D8EC7E80 9E00000C
	s_waitcnt vmcnt(15)                                        // 00000000B2E4: BF8C0F7F
	v_mfma_f32_16x16x32_fp8_fp8 v[192:195], a[64:65], v[128:129], 0// 00000000B2E8: D3F300C0 0A030140
	v_mfma_f32_16x16x32_fp8_fp8 v[192:195], a[66:67], v[130:131], v[192:195]// 00000000B2F0: D3F300C0 0F030542
	buffer_load_dwordx4 a[112:115], v37, s[20:23], 0 offen offset:1024// 00000000B2F8: E05C1400 80857025
	v_mfma_f32_16x16x32_fp8_fp8 v[192:195], a[68:69], v[132:133], v[192:195]// 00000000B300: D3F300C0 0F030944
	v_mfma_f32_16x16x32_fp8_fp8 v[192:195], a[70:71], v[134:135], v[192:195]// 00000000B308: D3F300C0 0F030D46
	v_mfma_f32_16x16x32_fp8_fp8 v[192:195], a[72:73], v[136:137], v[192:195]// 00000000B310: D3F300C0 0F031148
	v_mfma_f32_16x16x32_fp8_fp8 v[192:195], a[74:75], v[138:139], v[192:195]// 00000000B318: D3F300C0 0F03154A
	buffer_load_dwordx4 a[116:119], v38, s[20:23], 0 offen offset:1024// 00000000B320: E05C1400 80857426
	v_mfma_f32_16x16x32_fp8_fp8 v[192:195], a[76:77], v[140:141], v[192:195]// 00000000B328: D3F300C0 0F03194C
	v_mfma_f32_16x16x32_fp8_fp8 v[192:195], a[78:79], v[142:143], v[192:195]// 00000000B330: D3F300C0 0F031D4E
	v_mfma_f32_16x16x32_fp8_fp8 v[196:199], a[80:81], v[128:129], 0// 00000000B338: D3F300C4 0A030150
	v_mfma_f32_16x16x32_fp8_fp8 v[196:199], a[82:83], v[130:131], v[196:199]// 00000000B340: D3F300C4 0F130552
	buffer_load_dwordx4 a[120:123], v39, s[20:23], 0 offen offset:1024// 00000000B348: E05C1400 80857827
	v_mfma_f32_16x16x32_fp8_fp8 v[196:199], a[84:85], v[132:133], v[196:199]// 00000000B350: D3F300C4 0F130954
	v_mfma_f32_16x16x32_fp8_fp8 v[196:199], a[86:87], v[134:135], v[196:199]// 00000000B358: D3F300C4 0F130D56
	v_mfma_f32_16x16x32_fp8_fp8 v[196:199], a[88:89], v[136:137], v[196:199]// 00000000B360: D3F300C4 0F131158
	v_mfma_f32_16x16x32_fp8_fp8 v[196:199], a[90:91], v[138:139], v[196:199]// 00000000B368: D3F300C4 0F13155A
	buffer_load_dwordx4 a[124:127], v40, s[20:23], 0 offen offset:1024// 00000000B370: E05C1400 80857C28
	v_mfma_f32_16x16x32_fp8_fp8 v[196:199], a[92:93], v[140:141], v[196:199]// 00000000B378: D3F300C4 0F13195C
	s_lshr_b32 s57, s70, 4                                     // 00000000B380: 8F398446
	s_add_u32 s57, 48, s57                                     // 00000000B384: 803939B0
	v_mfma_f32_16x16x32_fp8_fp8 v[196:199], a[94:95], v[142:143], v[196:199]// 00000000B388: D3F300C4 0F131D5E
	s_cmp_ge_u32 s57, s73                                      // 00000000B390: BF094939
	s_cselect_b32 s56, 0, s56                                  // 00000000B394: 85383880
	v_mfma_f32_16x16x32_fp8_fp8 v[200:203], a[64:65], v[144:145], 0// 00000000B398: D3F300C8 0A032140
	v_mfma_f32_16x16x32_fp8_fp8 v[200:203], a[66:67], v[146:147], v[200:203]// 00000000B3A0: D3F300C8 0F232542
	v_mfma_f32_16x16x32_fp8_fp8 v[200:203], a[68:69], v[148:149], v[200:203]// 00000000B3A8: D3F300C8 0F232944
	v_mfma_f32_16x16x32_fp8_fp8 v[200:203], a[70:71], v[150:151], v[200:203]// 00000000B3B0: D3F300C8 0F232D46
	v_mfma_f32_16x16x32_fp8_fp8 v[200:203], a[72:73], v[152:153], v[200:203]// 00000000B3B8: D3F300C8 0F233148
	v_mfma_f32_16x16x32_fp8_fp8 v[200:203], a[74:75], v[154:155], v[200:203]// 00000000B3C0: D3F300C8 0F23354A
	v_mfma_f32_16x16x32_fp8_fp8 v[200:203], a[76:77], v[156:157], v[200:203]// 00000000B3C8: D3F300C8 0F23394C
	v_mfma_f32_16x16x32_fp8_fp8 v[200:203], a[78:79], v[158:159], v[200:203]// 00000000B3D0: D3F300C8 0F233D4E
	v_mfma_f32_16x16x32_fp8_fp8 v[204:207], a[80:81], v[144:145], 0// 00000000B3D8: D3F300CC 0A032150
	v_mfma_f32_16x16x32_fp8_fp8 v[204:207], a[82:83], v[146:147], v[204:207]// 00000000B3E0: D3F300CC 0F332552
	v_mfma_f32_16x16x32_fp8_fp8 v[204:207], a[84:85], v[148:149], v[204:207]// 00000000B3E8: D3F300CC 0F332954
	v_mfma_f32_16x16x32_fp8_fp8 v[204:207], a[86:87], v[150:151], v[204:207]// 00000000B3F0: D3F300CC 0F332D56
	v_mfma_f32_16x16x32_fp8_fp8 v[204:207], a[88:89], v[152:153], v[204:207]// 00000000B3F8: D3F300CC 0F333158
	v_mfma_f32_16x16x32_fp8_fp8 v[204:207], a[90:91], v[154:155], v[204:207]// 00000000B400: D3F300CC 0F33355A
	v_mfma_f32_16x16x32_fp8_fp8 v[204:207], a[92:93], v[156:157], v[204:207]// 00000000B408: D3F300CC 0F33395C
	v_mfma_f32_16x16x32_fp8_fp8 v[204:207], a[94:95], v[158:159], v[204:207]// 00000000B410: D3F300CC 0F333D5E
	v_add_u32_e32 v1, s56, v1                                  // 00000000B418: 68020238
	s_addk_i32 s70, 0x100                                      // 00000000B41C: B7460100
	s_cmp_lt_i32 s70, s71                                      // 00000000B420: BF044746
	s_cbranch_scc0 label_28C9                                  // 00000000B424: BF84043F
	s_waitcnt vmcnt(8) lgkmcnt(0)                              // 00000000B428: BF8C0078
	v_mul_u32_u24_dpp v41, v19, v68 row_newbcast:0 row_mask:0xf bank_mask:0xf// 00000000B42C: 105288FA FF015013
	v_mul_u32_u24_dpp v42, v19, v68 row_newbcast:4 row_mask:0xf bank_mask:0xf// 00000000B434: 105488FA FF015413
	v_mul_u32_u24_dpp v43, v19, v68 row_newbcast:8 row_mask:0xf bank_mask:0xf// 00000000B43C: 105688FA FF015813
	v_mul_u32_u24_dpp v44, v19, v68 row_newbcast:12 row_mask:0xf bank_mask:0xf// 00000000B444: 105888FA FF015C13
	v_add_u32_e32 v25, v41, v6                                 // 00000000B44C: 68320D29
	v_add_u32_e32 v26, v42, v6                                 // 00000000B450: 68340D2A
	v_add_u32_e32 v27, v43, v6                                 // 00000000B454: 68360D2B
	v_add_u32_e32 v28, v44, v6                                 // 00000000B458: 68380D2C
	v_mul_u32_u24_dpp v41, v19, v78 quad_perm:[0,0,0,0] row_mask:0xf bank_mask:0xf// 00000000B45C: 10529CFA FF000013
	v_add_u32_e32 v2, v41, v74                                 // 00000000B464: 68049529
	v_mul_u32_u24_dpp v41, v19, v78 quad_perm:[0,0,0,0] row_mask:0xf bank_mask:0xf// 00000000B468: 10529CFA FF000013
	v_add_u32_e32 v70, v41, v75                                // 00000000B470: 688C9729
	v_mfma_f32_16x16x32_fp8_fp8 v[128:131], a[32:33], v[96:97], 0// 00000000B474: D3F30080 0A02C120
	v_mfma_f32_16x16x32_fp8_fp8 v[128:131], a[34:35], v[98:99], v[128:131]// 00000000B47C: D3F30080 0E02C522
	buffer_load_dwordx4 a[0:3], v25, s[16:19], 0 offen         // 00000000B484: E05C1000 80840019
	v_mfma_f32_16x16x32_fp8_fp8 v[128:131], a[36:37], v[100:101], v[128:131]// 00000000B48C: D3F30080 0E02C924
	v_mfma_f32_16x16x32_fp8_fp8 v[128:131], a[38:39], v[102:103], v[128:131]// 00000000B494: D3F30080 0E02CD26
	buffer_load_dword v20, v1, s[24:27], 0 offen               // 00000000B49C: E0501000 80061401
	v_mfma_f32_16x16x32_fp8_fp8 v[132:135], a[40:41], v[96:97], 0// 00000000B4A4: D3F30084 0A02C128
	v_mfma_f32_16x16x32_fp8_fp8 v[132:135], a[42:43], v[98:99], v[132:135]// 00000000B4AC: D3F30084 0E12C52A
	buffer_load_dwordx4 a[4:7], v25, s[16:19], 0 offen offset:1024// 00000000B4B4: E05C1400 80840419
	v_mfma_f32_16x16x32_fp8_fp8 v[132:135], a[44:45], v[100:101], v[132:135]// 00000000B4BC: D3F30084 0E12C92C
	v_mfma_f32_16x16x32_fp8_fp8 v[132:135], a[46:47], v[102:103], v[132:135]// 00000000B4C4: D3F30084 0E12CD2E
	v_mfma_f32_16x16x32_fp8_fp8 v[136:139], a[48:49], v[96:97], 0// 00000000B4CC: D3F30088 0A02C130
	v_mfma_f32_16x16x32_fp8_fp8 v[136:139], a[50:51], v[98:99], v[136:139]// 00000000B4D4: D3F30088 0E22C532
	buffer_load_dwordx4 a[8:11], v26, s[16:19], 0 offen        // 00000000B4DC: E05C1000 8084081A
	v_mfma_f32_16x16x32_fp8_fp8 v[136:139], a[52:53], v[100:101], v[136:139]// 00000000B4E4: D3F30088 0E22C934
	v_mfma_f32_16x16x32_fp8_fp8 v[136:139], a[54:55], v[102:103], v[136:139]// 00000000B4EC: D3F30088 0E22CD36
	v_mfma_f32_16x16x32_fp8_fp8 v[140:143], a[56:57], v[96:97], 0// 00000000B4F4: D3F3008C 0A02C138
	v_mfma_f32_16x16x32_fp8_fp8 v[140:143], a[58:59], v[98:99], v[140:143]// 00000000B4FC: D3F3008C 0E32C53A
	buffer_load_dwordx4 a[12:15], v26, s[16:19], 0 offen offset:1024// 00000000B504: E05C1400 80840C1A
	v_mfma_f32_16x16x32_fp8_fp8 v[140:143], a[60:61], v[100:101], v[140:143]// 00000000B50C: D3F3008C 0E32C93C
	v_mfma_f32_16x16x32_fp8_fp8 v[140:143], a[62:63], v[102:103], v[140:143]// 00000000B514: D3F3008C 0E32CD3E
	v_mfma_f32_16x16x32_fp8_fp8 v[144:147], a[32:33], v[104:105], 0// 00000000B51C: D3F30090 0A02D120
	v_mfma_f32_16x16x32_fp8_fp8 v[144:147], a[34:35], v[106:107], v[144:147]// 00000000B524: D3F30090 0E42D522
	v_mfma_f32_16x16x32_fp8_fp8 v[144:147], a[36:37], v[108:109], v[144:147]// 00000000B52C: D3F30090 0E42D924
	v_mfma_f32_16x16x32_fp8_fp8 v[144:147], a[38:39], v[110:111], v[144:147]// 00000000B534: D3F30090 0E42DD26
	v_mfma_f32_16x16x32_fp8_fp8 v[148:151], a[40:41], v[104:105], 0// 00000000B53C: D3F30094 0A02D128
	v_mfma_f32_16x16x32_fp8_fp8 v[148:151], a[42:43], v[106:107], v[148:151]// 00000000B544: D3F30094 0E52D52A
	v_mfma_f32_16x16x32_fp8_fp8 v[148:151], a[44:45], v[108:109], v[148:151]// 00000000B54C: D3F30094 0E52D92C
	v_mfma_f32_16x16x32_fp8_fp8 v[148:151], a[46:47], v[110:111], v[148:151]// 00000000B554: D3F30094 0E52DD2E
	v_mfma_f32_16x16x32_fp8_fp8 v[152:155], a[48:49], v[104:105], 0// 00000000B55C: D3F30098 0A02D130
	v_mfma_f32_16x16x32_fp8_fp8 v[152:155], a[50:51], v[106:107], v[152:155]// 00000000B564: D3F30098 0E62D532
	v_mfma_f32_16x16x32_fp8_fp8 v[152:155], a[52:53], v[108:109], v[152:155]// 00000000B56C: D3F30098 0E62D934
	v_mfma_f32_16x16x32_fp8_fp8 v[152:155], a[54:55], v[110:111], v[152:155]// 00000000B574: D3F30098 0E62DD36
	v_mfma_f32_16x16x32_fp8_fp8 v[156:159], a[56:57], v[104:105], 0// 00000000B57C: D3F3009C 0A02D138
	v_mfma_f32_16x16x32_fp8_fp8 v[156:159], a[58:59], v[106:107], v[156:159]// 00000000B584: D3F3009C 0E72D53A
	v_mfma_f32_16x16x32_fp8_fp8 v[156:159], a[60:61], v[108:109], v[156:159]// 00000000B58C: D3F3009C 0E72D93C
	v_mfma_f32_16x16x32_fp8_fp8 v[156:159], a[62:63], v[110:111], v[156:159]// 00000000B594: D3F3009C 0E72DD3E
	buffer_load_dword v52, v2, s[32:35], 0 offen               // 00000000B59C: E0501000 80083402
	v_mov_b32_dpp v41, v53 row_shr:4 row_mask:0xf bank_mask:0xf// 00000000B5A4: 7E5202FA FF011435
	v_mov_b32_dpp v42, v53 row_shl:4 row_mask:0xf bank_mask:0xf// 00000000B5AC: 7E5402FA FF010435
	v_cndmask_b32_e64 v248, v53, v41, s[44:45]                 // 00000000B5B4: D10000F8 00B25335
	v_cndmask_b32_e64 v249, v42, v53, s[44:45]                 // 00000000B5BC: D10000F9 00B26B2A
	v_mov_b32_dpp v41, v248 row_shr:8 row_mask:0xf bank_mask:0xf// 00000000B5C4: 7E5202FA FF0118F8
	v_mov_b32_dpp v42, v248 row_shl:8 row_mask:0xf bank_mask:0xf// 00000000B5CC: 7E5402FA FF0108F8
	v_mov_b32_dpp v43, v249 row_shr:8 row_mask:0xf bank_mask:0xf// 00000000B5D4: 7E5602FA FF0118F9
	v_mov_b32_dpp v44, v249 row_shl:8 row_mask:0xf bank_mask:0xf// 00000000B5DC: 7E5802FA FF0108F9
	v_mov_b32_e32 v45, v248                                    // 00000000B5E4: 7E5A03F8
	v_mov_b32_e32 v46, v249                                    // 00000000B5E8: 7E5C03F9
	v_cndmask_b32_e64 v248, v45, v41, s[42:43]                 // 00000000B5EC: D10000F8 00AA532D
	v_cndmask_b32_e64 v250, v45, v42, s[78:79]                 // 00000000B5F4: D10000FA 013A552D
	v_cndmask_b32_e64 v249, v46, v43, s[42:43]                 // 00000000B5FC: D10000F9 00AA572E
	v_cndmask_b32_e64 v251, v46, v44, s[78:79]                 // 00000000B604: D10000FB 013A592E
	v_mov_b32_dpp v41, v73 row_shr:4 row_mask:0xf bank_mask:0xf// 00000000B60C: 7E5202FA FF011449
	v_mov_b32_dpp v42, v73 row_shl:4 row_mask:0xf bank_mask:0xf// 00000000B614: 7E5402FA FF010449
	v_cndmask_b32_e64 v252, v73, v41, s[44:45]                 // 00000000B61C: D10000FC 00B25349
	v_cndmask_b32_e64 v253, v42, v73, s[44:45]                 // 00000000B624: D10000FD 00B2932A
	v_mov_b32_dpp v41, v252 row_shr:8 row_mask:0xf bank_mask:0xf// 00000000B62C: 7E5202FA FF0118FC
	v_mov_b32_dpp v42, v252 row_shl:8 row_mask:0xf bank_mask:0xf// 00000000B634: 7E5402FA FF0108FC
	v_mov_b32_dpp v43, v253 row_shr:8 row_mask:0xf bank_mask:0xf// 00000000B63C: 7E5602FA FF0118FD
	v_mov_b32_dpp v44, v253 row_shl:8 row_mask:0xf bank_mask:0xf// 00000000B644: 7E5802FA FF0108FD
	v_mov_b32_e32 v45, v252                                    // 00000000B64C: 7E5A03FC
	v_mov_b32_e32 v46, v253                                    // 00000000B650: 7E5C03FD
	v_cndmask_b32_e64 v252, v45, v41, s[42:43]                 // 00000000B654: D10000FC 00AA532D
	v_cndmask_b32_e64 v254, v45, v42, s[78:79]                 // 00000000B65C: D10000FE 013A552D
	v_cndmask_b32_e64 v253, v46, v43, s[42:43]                 // 00000000B664: D10000FD 00AA572E
	v_cndmask_b32_e64 v255, v46, v44, s[78:79]                 // 00000000B66C: D10000FF 013A592E
	buffer_load_dword v72, v70, s[36:39], 0 offen              // 00000000B674: E0501000 80094846
	v_mul_f32_e32 v128, v54, v128                              // 00000000B67C: 0B010136
	v_mul_f32_e32 v129, v54, v129                              // 00000000B680: 0B030336
	v_mul_f32_e32 v130, v54, v130                              // 00000000B684: 0B050536
	v_mul_f32_e32 v131, v54, v131                              // 00000000B688: 0B070736
	v_mul_f32_e32 v132, v54, v132                              // 00000000B68C: 0B090936
	v_mul_f32_e32 v133, v54, v133                              // 00000000B690: 0B0B0B36
	v_mul_f32_e32 v134, v54, v134                              // 00000000B694: 0B0D0D36
	v_mul_f32_e32 v135, v54, v135                              // 00000000B698: 0B0F0F36
	v_mul_f32_e32 v136, v54, v136                              // 00000000B69C: 0B111136
	v_mul_f32_e32 v137, v54, v137                              // 00000000B6A0: 0B131336
	v_mul_f32_e32 v138, v54, v138                              // 00000000B6A4: 0B151536
	v_mul_f32_e32 v139, v54, v139                              // 00000000B6A8: 0B171736
	v_mul_f32_e32 v140, v54, v140                              // 00000000B6AC: 0B191936
	v_mul_f32_e32 v141, v54, v141                              // 00000000B6B0: 0B1B1B36
	v_mul_f32_e32 v142, v54, v142                              // 00000000B6B4: 0B1D1D36
	v_mul_f32_e32 v143, v54, v143                              // 00000000B6B8: 0B1F1F36
	buffer_load_dwordx4 a[16:19], v27, s[16:19], 0 offen       // 00000000B6BC: E05C1000 8084101B
	v_mul_f32_dpp v128, v248, v128 quad_perm:[0,0,0,0] row_mask:0xf bank_mask:0xf// 00000000B6C4: 0B0100FA FF0000F8
	v_mul_f32_dpp v129, v248, v129 quad_perm:[1,1,1,1] row_mask:0xf bank_mask:0xf// 00000000B6CC: 0B0302FA FF0055F8
	v_mul_f32_dpp v130, v248, v130 quad_perm:[2,2,2,2] row_mask:0xf bank_mask:0xf// 00000000B6D4: 0B0504FA FF00AAF8
	v_mul_f32_dpp v131, v248, v131 quad_perm:[3,3,3,3] row_mask:0xf bank_mask:0xf// 00000000B6DC: 0B0706FA FF00FFF8
	v_mul_f32_dpp v132, v249, v132 quad_perm:[0,0,0,0] row_mask:0xf bank_mask:0xf// 00000000B6E4: 0B0908FA FF0000F9
	v_mul_f32_dpp v133, v249, v133 quad_perm:[1,1,1,1] row_mask:0xf bank_mask:0xf// 00000000B6EC: 0B0B0AFA FF0055F9
	v_mul_f32_dpp v134, v249, v134 quad_perm:[2,2,2,2] row_mask:0xf bank_mask:0xf// 00000000B6F4: 0B0D0CFA FF00AAF9
	v_mul_f32_dpp v135, v249, v135 quad_perm:[3,3,3,3] row_mask:0xf bank_mask:0xf// 00000000B6FC: 0B0F0EFA FF00FFF9
	v_mul_f32_dpp v136, v250, v136 quad_perm:[0,0,0,0] row_mask:0xf bank_mask:0xf// 00000000B704: 0B1110FA FF0000FA
	v_mul_f32_dpp v137, v250, v137 quad_perm:[1,1,1,1] row_mask:0xf bank_mask:0xf// 00000000B70C: 0B1312FA FF0055FA
	v_mul_f32_dpp v138, v250, v138 quad_perm:[2,2,2,2] row_mask:0xf bank_mask:0xf// 00000000B714: 0B1514FA FF00AAFA
	v_mul_f32_dpp v139, v250, v139 quad_perm:[3,3,3,3] row_mask:0xf bank_mask:0xf// 00000000B71C: 0B1716FA FF00FFFA
	v_mul_f32_dpp v140, v251, v140 quad_perm:[0,0,0,0] row_mask:0xf bank_mask:0xf// 00000000B724: 0B1918FA FF0000FB
	v_mul_f32_dpp v141, v251, v141 quad_perm:[1,1,1,1] row_mask:0xf bank_mask:0xf// 00000000B72C: 0B1B1AFA FF0055FB
	v_mul_f32_dpp v142, v251, v142 quad_perm:[2,2,2,2] row_mask:0xf bank_mask:0xf// 00000000B734: 0B1D1CFA FF00AAFB
	v_mul_f32_dpp v143, v251, v143 quad_perm:[3,3,3,3] row_mask:0xf bank_mask:0xf// 00000000B73C: 0B1F1EFA FF00FFFB
	buffer_load_dwordx4 a[20:23], v27, s[16:19], 0 offen offset:1024// 00000000B744: E05C1400 8084141B
	v_mov_b32_e32 v62, v128                                    // 00000000B74C: 7E7C0380
	v_max3_f32 v62, v128, v129, v62                            // 00000000B750: D1D3003E 04FB0380
	v_max3_f32 v62, v130, v131, v62                            // 00000000B758: D1D3003E 04FB0782
	v_max3_f32 v62, v132, v133, v62                            // 00000000B760: D1D3003E 04FB0B84
	v_max3_f32 v62, v134, v135, v62                            // 00000000B768: D1D3003E 04FB0F86
	v_max3_f32 v62, v136, v137, v62                            // 00000000B770: D1D3003E 04FB1388
	v_max3_f32 v62, v138, v139, v62                            // 00000000B778: D1D3003E 04FB178A
	v_max3_f32 v62, v140, v141, v62                            // 00000000B780: D1D3003E 04FB1B8C
	v_max3_f32 v62, v142, v143, v62                            // 00000000B788: D1D3003E 04FB1F8E
	ds_write_b32 v11, v62 offset:16896                         // 00000000B790: D81A4200 00003E0B
	buffer_load_dwordx4 a[24:27], v28, s[16:19], 0 offen       // 00000000B798: E05C1000 8084181C
	v_mul_u32_u24_dpp v41, v19, v68 row_newbcast:1 row_mask:0xf bank_mask:0xf// 00000000B7A0: 105288FA FF015113
	v_mul_u32_u24_dpp v42, v19, v68 row_newbcast:5 row_mask:0xf bank_mask:0xf// 00000000B7A8: 105488FA FF015513
	v_mul_u32_u24_dpp v43, v19, v68 row_newbcast:9 row_mask:0xf bank_mask:0xf// 00000000B7B0: 105688FA FF015913
	v_mul_u32_u24_dpp v44, v19, v68 row_newbcast:13 row_mask:0xf bank_mask:0xf// 00000000B7B8: 105888FA FF015D13
	v_add_u32_e32 v33, v41, v7                                 // 00000000B7C0: 68420F29
	v_add_u32_e32 v34, v42, v7                                 // 00000000B7C4: 68440F2A
	v_add_u32_e32 v35, v43, v7                                 // 00000000B7C8: 68460F2B
	v_add_u32_e32 v36, v44, v7                                 // 00000000B7CC: 68480F2C
	v_mul_f32_e32 v224, v63, v224                              // 00000000B7D0: 0BC1C13F
	v_mul_f32_e32 v225, v63, v225                              // 00000000B7D4: 0BC3C33F
	v_mul_f32_e32 v226, v63, v226                              // 00000000B7D8: 0BC5C53F
	v_mul_f32_e32 v227, v63, v227                              // 00000000B7DC: 0BC7C73F
	v_mul_f32_e32 v228, v63, v228                              // 00000000B7E0: 0BC9C93F
	v_mul_f32_e32 v229, v63, v229                              // 00000000B7E4: 0BCBCB3F
	v_mul_f32_e32 v230, v63, v230                              // 00000000B7E8: 0BCDCD3F
	v_mul_f32_e32 v231, v63, v231                              // 00000000B7EC: 0BCFCF3F
	s_waitcnt lgkmcnt(0)                                       // 00000000B7F0: BF8CC07F
	s_barrier                                                  // 00000000B7F4: BF8A0000
	ds_read_b32 v80, v10 offset:16896                          // 00000000B7F8: D86C4200 5000000A
	ds_read_b32 v81, v10 offset:16960                          // 00000000B800: D86C4240 5100000A
	ds_read_b32 v82, v10 offset:17024                          // 00000000B808: D86C4280 5200000A
	ds_read_b32 v83, v10 offset:17088                          // 00000000B810: D86C42C0 5300000A
	ds_read_b32 v84, v10 offset:17152                          // 00000000B818: D86C4300 5400000A
	ds_read_b32 v85, v10 offset:17216                          // 00000000B820: D86C4340 5500000A
	ds_read_b32 v86, v10 offset:17280                          // 00000000B828: D86C4380 5600000A
	ds_read_b32 v87, v10 offset:17344                          // 00000000B830: D86C43C0 5700000A
	ds_read_b32 v88, v10 offset:17408                          // 00000000B838: D86C4400 5800000A
	ds_read_b32 v89, v10 offset:17472                          // 00000000B840: D86C4440 5900000A
	ds_read_b32 v90, v10 offset:17536                          // 00000000B848: D86C4480 5A00000A
	ds_read_b32 v91, v10 offset:17600                          // 00000000B850: D86C44C0 5B00000A
	ds_read_b32 v92, v10 offset:17664                          // 00000000B858: D86C4500 5C00000A
	ds_read_b32 v93, v10 offset:17728                          // 00000000B860: D86C4540 5D00000A
	ds_read_b32 v94, v10 offset:17792                          // 00000000B868: D86C4580 5E00000A
	ds_read_b32 v95, v10 offset:17856                          // 00000000B870: D86C45C0 5F00000A
	buffer_load_dwordx4 a[28:31], v28, s[16:19], 0 offen offset:1024// 00000000B878: E05C1400 80841C1C
	v_mul_f32_e32 v192, v58, v192                              // 00000000B880: 0B81813A
	v_mul_f32_e32 v193, v58, v193                              // 00000000B884: 0B83833A
	v_mul_f32_e32 v194, v58, v194                              // 00000000B888: 0B85853A
	v_mul_f32_e32 v195, v58, v195                              // 00000000B88C: 0B87873A
	v_mul_f32_e32 v196, v58, v196                              // 00000000B890: 0B89893A
	v_mul_f32_e32 v197, v58, v197                              // 00000000B894: 0B8B8B3A
	v_mul_f32_e32 v198, v58, v198                              // 00000000B898: 0B8D8D3A
	v_mul_f32_e32 v199, v58, v199                              // 00000000B89C: 0B8F8F3A
	s_waitcnt lgkmcnt(0)                                       // 00000000B8A0: BF8CC07F
	v_max3_f32 v62, v80, v81, v62                              // 00000000B8A4: D1D3003E 04FAA350
	v_max3_f32 v62, v82, v83, v62                              // 00000000B8AC: D1D3003E 04FAA752
	v_max3_f32 v62, v84, v85, v62                              // 00000000B8B4: D1D3003E 04FAAB54
	v_max3_f32 v62, v86, v87, v62                              // 00000000B8BC: D1D3003E 04FAAF56
	v_max3_f32 v62, v88, v89, v62                              // 00000000B8C4: D1D3003E 04FAB358
	v_max3_f32 v62, v90, v91, v62                              // 00000000B8CC: D1D3003E 04FAB75A
	v_max3_f32 v62, v92, v93, v62                              // 00000000B8D4: D1D3003E 04FABB5C
	v_max3_f32 v62, v94, v95, v62                              // 00000000B8DC: D1D3003E 04FABF5E
	buffer_load_dwordx4 a[64:67], v33, s[20:23], 0 offen       // 00000000B8E4: E05C1000 80854021
	v_mov_b32_e32 v41, 0xff800000                              // 00000000B8EC: 7E5202FF FF800000
	v_cmp_eq_u32_e64 s[40:41], v41, v14                        // 00000000B8F4: D0CA0028 00021D29
	s_nop 1                                                    // 00000000B8FC: BF800001
	v_max_f32_e32 v18, v62, v14                                // 00000000B900: 16241D3E
	v_mul_f32_e32 v67, s64, v18                                // 00000000B904: 0A862440
	v_fma_f32 v128, v128, s64, -v67                            // 00000000B908: D1CB0080 850C8180
	v_fma_f32 v129, v129, s64, -v67                            // 00000000B910: D1CB0081 850C8181
	v_fma_f32 v130, v130, s64, -v67                            // 00000000B918: D1CB0082 850C8182
	v_fma_f32 v131, v131, s64, -v67                            // 00000000B920: D1CB0083 850C8183
	v_fma_f32 v132, v132, s64, -v67                            // 00000000B928: D1CB0084 850C8184
	v_fma_f32 v133, v133, s64, -v67                            // 00000000B930: D1CB0085 850C8185
	v_fma_f32 v134, v134, s64, -v67                            // 00000000B938: D1CB0086 850C8186
	v_fma_f32 v135, v135, s64, -v67                            // 00000000B940: D1CB0087 850C8187
	v_fma_f32 v136, v136, s64, -v67                            // 00000000B948: D1CB0088 850C8188
	v_fma_f32 v137, v137, s64, -v67                            // 00000000B950: D1CB0089 850C8189
	v_fma_f32 v138, v138, s64, -v67                            // 00000000B958: D1CB008A 850C818A
	v_fma_f32 v139, v139, s64, -v67                            // 00000000B960: D1CB008B 850C818B
	v_fma_f32 v140, v140, s64, -v67                            // 00000000B968: D1CB008C 850C818C
	v_fma_f32 v141, v141, s64, -v67                            // 00000000B970: D1CB008D 850C818D
	v_fma_f32 v142, v142, s64, -v67                            // 00000000B978: D1CB008E 850C818E
	v_fma_f32 v143, v143, s64, -v67                            // 00000000B980: D1CB008F 850C818F
	buffer_load_dwordx4 a[68:71], v34, s[20:23], 0 offen       // 00000000B988: E05C1000 80854422
	v_exp_f32_e32 v128, v128                                   // 00000000B990: 7F004180
	v_exp_f32_e32 v129, v129                                   // 00000000B994: 7F024181
	v_exp_f32_e32 v130, v130                                   // 00000000B998: 7F044182
	v_exp_f32_e32 v131, v131                                   // 00000000B99C: 7F064183
	v_exp_f32_e32 v132, v132                                   // 00000000B9A0: 7F084184
	v_exp_f32_e32 v133, v133                                   // 00000000B9A4: 7F0A4185
	v_exp_f32_e32 v134, v134                                   // 00000000B9A8: 7F0C4186
	v_exp_f32_e32 v135, v135                                   // 00000000B9AC: 7F0E4187
	v_exp_f32_e32 v136, v136                                   // 00000000B9B0: 7F104188
	v_exp_f32_e32 v137, v137                                   // 00000000B9B4: 7F124189
	v_exp_f32_e32 v138, v138                                   // 00000000B9B8: 7F14418A
	v_exp_f32_e32 v139, v139                                   // 00000000B9BC: 7F16418B
	v_exp_f32_e32 v140, v140                                   // 00000000B9C0: 7F18418C
	v_exp_f32_e32 v141, v141                                   // 00000000B9C4: 7F1A418D
	v_exp_f32_e32 v142, v142                                   // 00000000B9C8: 7F1C418E
	v_exp_f32_e32 v143, v143                                   // 00000000B9CC: 7F1E418F
	buffer_load_dwordx4 a[72:75], v35, s[20:23], 0 offen       // 00000000B9D0: E05C1000 80854823
	v_mul_f32_dpp v240, v252, v128 quad_perm:[0,0,0,0] row_mask:0xf bank_mask:0xf// 00000000B9D8: 0BE100FA FF0000FC
	v_mul_f32_dpp v241, v252, v129 quad_perm:[1,1,1,1] row_mask:0xf bank_mask:0xf// 00000000B9E0: 0BE302FA FF0055FC
	v_mul_f32_dpp v242, v252, v130 quad_perm:[2,2,2,2] row_mask:0xf bank_mask:0xf// 00000000B9E8: 0BE504FA FF00AAFC
	v_mul_f32_dpp v243, v252, v131 quad_perm:[3,3,3,3] row_mask:0xf bank_mask:0xf// 00000000B9F0: 0BE706FA FF00FFFC
	v_mul_f32_dpp v244, v253, v132 quad_perm:[0,0,0,0] row_mask:0xf bank_mask:0xf// 00000000B9F8: 0BE908FA FF0000FD
	v_mul_f32_dpp v245, v253, v133 quad_perm:[1,1,1,1] row_mask:0xf bank_mask:0xf// 00000000BA00: 0BEB0AFA FF0055FD
	v_mul_f32_dpp v246, v253, v134 quad_perm:[2,2,2,2] row_mask:0xf bank_mask:0xf// 00000000BA08: 0BED0CFA FF00AAFD
	v_mul_f32_dpp v247, v253, v135 quad_perm:[3,3,3,3] row_mask:0xf bank_mask:0xf// 00000000BA10: 0BEF0EFA FF00FFFD
	v_mul_f32_dpp v248, v254, v136 quad_perm:[0,0,0,0] row_mask:0xf bank_mask:0xf// 00000000BA18: 0BF110FA FF0000FE
	v_mul_f32_dpp v249, v254, v137 quad_perm:[1,1,1,1] row_mask:0xf bank_mask:0xf// 00000000BA20: 0BF312FA FF0055FE
	v_mul_f32_dpp v250, v254, v138 quad_perm:[2,2,2,2] row_mask:0xf bank_mask:0xf// 00000000BA28: 0BF514FA FF00AAFE
	v_mul_f32_dpp v251, v254, v139 quad_perm:[3,3,3,3] row_mask:0xf bank_mask:0xf// 00000000BA30: 0BF716FA FF00FFFE
	v_mul_f32_dpp v252, v255, v140 quad_perm:[0,0,0,0] row_mask:0xf bank_mask:0xf// 00000000BA38: 0BF918FA FF0000FF
	v_mul_f32_dpp v253, v255, v141 quad_perm:[1,1,1,1] row_mask:0xf bank_mask:0xf// 00000000BA40: 0BFB1AFA FF0055FF
	v_mul_f32_dpp v254, v255, v142 quad_perm:[2,2,2,2] row_mask:0xf bank_mask:0xf// 00000000BA48: 0BFD1CFA FF00AAFF
	v_mul_f32_dpp v255, v255, v143 quad_perm:[3,3,3,3] row_mask:0xf bank_mask:0xf// 00000000BA50: 0BFF1EFA FF00FFFF
	v_mov_b32_e32 v62, 0x358637bd                              // 00000000BA58: 7E7C02FF 358637BD
	v_max3_f32 v62, |v240|, |v241|, v62                        // 00000000BA60: D1D3033E 04FBE3F0
	v_max3_f32 v62, |v242|, |v243|, v62                        // 00000000BA68: D1D3033E 04FBE7F2
	v_max3_f32 v62, |v244|, |v245|, v62                        // 00000000BA70: D1D3033E 04FBEBF4
	v_max3_f32 v62, |v246|, |v247|, v62                        // 00000000BA78: D1D3033E 04FBEFF6
	v_max3_f32 v62, |v248|, |v249|, v62                        // 00000000BA80: D1D3033E 04FBF3F8
	v_max3_f32 v62, |v250|, |v251|, v62                        // 00000000BA88: D1D3033E 04FBF7FA
	v_max3_f32 v62, |v252|, |v253|, v62                        // 00000000BA90: D1D3033E 04FBFBFC
	v_max3_f32 v62, |v254|, |v255|, v62                        // 00000000BA98: D1D3033E 04FBFFFE
	buffer_load_dwordx4 a[76:79], v36, s[20:23], 0 offen       // 00000000BAA0: E05C1000 80854C24
	ds_write_b32 v11, v62 offset:20992                         // 00000000BAA8: D81A5200 00003E0B
	v_sub_f32_e32 v63, v14, v18                                // 00000000BAB0: 047E250E
	v_cndmask_b32_e64 v63, v63, 0, s[40:41]                    // 00000000BAB4: D100003F 00A1013F
	v_mov_b32_e32 v14, v18                                     // 00000000BABC: 7E1C0312
	v_mul_f32_e32 v63, s64, v63                                // 00000000BAC0: 0A7E7E40
	v_exp_f32_e32 v63, v63                                     // 00000000BAC4: 7E7E413F
	s_waitcnt lgkmcnt(0)                                       // 00000000BAC8: BF8CC07F
	s_barrier                                                  // 00000000BACC: BF8A0000
	ds_read_b32 v80, v10 offset:20992                          // 00000000BAD0: D86C5200 5000000A
	ds_read_b32 v81, v10 offset:21056                          // 00000000BAD8: D86C5240 5100000A
	ds_read_b32 v82, v10 offset:21120                          // 00000000BAE0: D86C5280 5200000A
	ds_read_b32 v83, v10 offset:21184                          // 00000000BAE8: D86C52C0 5300000A
	ds_read_b32 v84, v10 offset:21248                          // 00000000BAF0: D86C5300 5400000A
	ds_read_b32 v85, v10 offset:21312                          // 00000000BAF8: D86C5340 5500000A
	ds_read_b32 v86, v10 offset:21376                          // 00000000BB00: D86C5380 5600000A
	ds_read_b32 v87, v10 offset:21440                          // 00000000BB08: D86C53C0 5700000A
	ds_read_b32 v88, v10 offset:21504                          // 00000000BB10: D86C5400 5800000A
	ds_read_b32 v89, v10 offset:21568                          // 00000000BB18: D86C5440 5900000A
	ds_read_b32 v90, v10 offset:21632                          // 00000000BB20: D86C5480 5A00000A
	ds_read_b32 v91, v10 offset:21696                          // 00000000BB28: D86C54C0 5B00000A
	ds_read_b32 v92, v10 offset:21760                          // 00000000BB30: D86C5500 5C00000A
	ds_read_b32 v93, v10 offset:21824                          // 00000000BB38: D86C5540 5D00000A
	ds_read_b32 v94, v10 offset:21888                          // 00000000BB40: D86C5580 5E00000A
	ds_read_b32 v95, v10 offset:21952                          // 00000000BB48: D86C55C0 5F00000A
	v_mul_f32_e32 v47, v63, v47                                // 00000000BB50: 0A5E5F3F
	v_mov_b32_e32 v18, v128                                    // 00000000BB54: 7E240380
	v_add_f32_e32 v18, v129, v18                               // 00000000BB58: 02242581
	v_add_f32_e32 v18, v130, v18                               // 00000000BB5C: 02242582
	v_add_f32_e32 v18, v131, v18                               // 00000000BB60: 02242583
	v_add_f32_e32 v18, v132, v18                               // 00000000BB64: 02242584
	v_add_f32_e32 v18, v133, v18                               // 00000000BB68: 02242585
	v_add_f32_e32 v18, v134, v18                               // 00000000BB6C: 02242586
	v_add_f32_e32 v18, v135, v18                               // 00000000BB70: 02242587
	v_add_f32_e32 v18, v136, v18                               // 00000000BB74: 02242588
	v_add_f32_e32 v18, v137, v18                               // 00000000BB78: 02242589
	v_add_f32_e32 v18, v138, v18                               // 00000000BB7C: 0224258A
	v_add_f32_e32 v18, v139, v18                               // 00000000BB80: 0224258B
	v_add_f32_e32 v18, v140, v18                               // 00000000BB84: 0224258C
	v_add_f32_e32 v18, v141, v18                               // 00000000BB88: 0224258D
	v_add_f32_e32 v18, v142, v18                               // 00000000BB8C: 0224258E
	v_add_f32_e32 v18, v143, v18                               // 00000000BB90: 0224258F
	v_add_f32_e32 v47, v18, v47                                // 00000000BB94: 025E5F12
	s_waitcnt lgkmcnt(0)                                       // 00000000BB98: BF8CC07F
	v_max3_f32 v62, |v80|, |v81|, v62                          // 00000000BB9C: D1D3033E 04FAA350
	v_max3_f32 v62, |v82|, |v83|, v62                          // 00000000BBA4: D1D3033E 04FAA752
	v_max3_f32 v62, |v84|, |v85|, v62                          // 00000000BBAC: D1D3033E 04FAAB54
	v_max3_f32 v62, |v86|, |v87|, v62                          // 00000000BBB4: D1D3033E 04FAAF56
	v_max3_f32 v62, |v88|, |v89|, v62                          // 00000000BBBC: D1D3033E 04FAB358
	v_max3_f32 v62, |v90|, |v91|, v62                          // 00000000BBC4: D1D3033E 04FAB75A
	v_max3_f32 v62, |v92|, |v93|, v62                          // 00000000BBCC: D1D3033E 04FABB5C
	v_max3_f32 v62, |v94|, |v95|, v62                          // 00000000BBD4: D1D3033E 04FABF5E
	s_nop 2                                                    // 00000000BBDC: BF800002
	v_rcp_f32_e32 v62, v62                                     // 00000000BBE0: 7E7C453E
	s_nop 1                                                    // 00000000BBE4: BF800001
	v_mul_f32_e32 v62, 0x43700000, v62                         // 00000000BBE8: 0A7C7CFF 43700000
	v_mul_f32_e32 v128, v62, v240                              // 00000000BBF0: 0B01E13E
	v_mul_f32_e32 v129, v62, v241                              // 00000000BBF4: 0B03E33E
	v_mul_f32_e32 v130, v62, v242                              // 00000000BBF8: 0B05E53E
	v_mul_f32_e32 v131, v62, v243                              // 00000000BBFC: 0B07E73E
	v_mul_f32_e32 v132, v62, v244                              // 00000000BC00: 0B09E93E
	v_mul_f32_e32 v133, v62, v245                              // 00000000BC04: 0B0BEB3E
	v_mul_f32_e32 v134, v62, v246                              // 00000000BC08: 0B0DED3E
	v_mul_f32_e32 v135, v62, v247                              // 00000000BC0C: 0B0FEF3E
	v_mul_f32_e32 v136, v62, v248                              // 00000000BC10: 0B11F13E
	v_mul_f32_e32 v137, v62, v249                              // 00000000BC14: 0B13F33E
	v_mul_f32_e32 v138, v62, v250                              // 00000000BC18: 0B15F53E
	v_mul_f32_e32 v139, v62, v251                              // 00000000BC1C: 0B17F73E
	v_mul_f32_e32 v140, v62, v252                              // 00000000BC20: 0B19F93E
	v_mul_f32_e32 v141, v62, v253                              // 00000000BC24: 0B1BFB3E
	v_mul_f32_e32 v142, v62, v254                              // 00000000BC28: 0B1DFD3E
	v_mul_f32_e32 v143, v62, v255                              // 00000000BC2C: 0B1FFF3E
	v_cvt_pk_fp8_f32 v128, v128, v129                          // 00000000BC30: D2A20080 00030380
	v_cvt_pk_fp8_f32 v128, v130, v131 op_sel:[0,0,1]           // 00000000BC38: D2A24080 00030782
	v_cvt_pk_fp8_f32 v129, v132, v133                          // 00000000BC40: D2A20081 00030B84
	v_cvt_pk_fp8_f32 v129, v134, v135 op_sel:[0,0,1]           // 00000000BC48: D2A24081 00030F86
	v_cvt_pk_fp8_f32 v130, v136, v137                          // 00000000BC50: D2A20082 00031388
	v_cvt_pk_fp8_f32 v130, v138, v139 op_sel:[0,0,1]           // 00000000BC58: D2A24082 0003178A
	v_cvt_pk_fp8_f32 v131, v140, v141                          // 00000000BC60: D2A20083 00031B8C
	v_cvt_pk_fp8_f32 v131, v142, v143 op_sel:[0,0,1]           // 00000000BC68: D2A24083 00031F8E
	ds_write_b32 v13, v128 offset:25088                        // 00000000BC70: D81A6200 0000800D
	ds_write_b32 v13, v129 offset:26112                        // 00000000BC78: D81A6600 0000810D
	ds_write_b32 v13, v130 offset:27136                        // 00000000BC80: D81A6A00 0000820D
	ds_write_b32 v13, v131 offset:28160                        // 00000000BC88: D81A6E00 0000830D
	v_add_f32_e32 v224, v224, v192                             // 00000000BC90: 03C181E0
	v_add_f32_e32 v225, v225, v193                             // 00000000BC94: 03C383E1
	v_add_f32_e32 v226, v226, v194                             // 00000000BC98: 03C585E2
	v_add_f32_e32 v227, v227, v195                             // 00000000BC9C: 03C787E3
	v_add_f32_e32 v228, v228, v196                             // 00000000BCA0: 03C989E4
	v_add_f32_e32 v229, v229, v197                             // 00000000BCA4: 03CB8BE5
	v_add_f32_e32 v230, v230, v198                             // 00000000BCA8: 03CD8DE6
	v_add_f32_e32 v231, v231, v199                             // 00000000BCAC: 03CF8FE7
	v_rcp_f32_e32 v58, v62                                     // 00000000BCB0: 7E74453E
	s_waitcnt lgkmcnt(0)                                       // 00000000BCB4: BF8CC07F
	s_barrier                                                  // 00000000BCB8: BF8A0000
	ds_read_b64 v[128:129], v12 offset:25088                   // 00000000BCBC: D8EC6200 8000000C
	ds_read_b64 v[130:131], v12 offset:25216                   // 00000000BCC4: D8EC6280 8200000C
	ds_read_b64 v[132:133], v12 offset:26112                   // 00000000BCCC: D8EC6600 8400000C
	ds_read_b64 v[134:135], v12 offset:26240                   // 00000000BCD4: D8EC6680 8600000C
	ds_read_b64 v[136:137], v12 offset:27136                   // 00000000BCDC: D8EC6A00 8800000C
	ds_read_b64 v[138:139], v12 offset:27264                   // 00000000BCE4: D8EC6A80 8A00000C
	ds_read_b64 v[140:141], v12 offset:28160                   // 00000000BCEC: D8EC6E00 8C00000C
	ds_read_b64 v[142:143], v12 offset:28288                   // 00000000BCF4: D8EC6E80 8E00000C
	v_mov_b32_dpp v41, v53 row_shr:4 row_mask:0xf bank_mask:0xf// 00000000BCFC: 7E5202FA FF011435
	v_mov_b32_dpp v42, v53 row_shl:4 row_mask:0xf bank_mask:0xf// 00000000BD04: 7E5402FA FF010435
	v_cndmask_b32_e64 v248, v53, v41, s[44:45]                 // 00000000BD0C: D10000F8 00B25335
	v_cndmask_b32_e64 v249, v42, v53, s[44:45]                 // 00000000BD14: D10000F9 00B26B2A
	v_mov_b32_dpp v41, v248 row_shr:8 row_mask:0xf bank_mask:0xf// 00000000BD1C: 7E5202FA FF0118F8
	v_mov_b32_dpp v42, v248 row_shl:8 row_mask:0xf bank_mask:0xf// 00000000BD24: 7E5402FA FF0108F8
	v_mov_b32_dpp v43, v249 row_shr:8 row_mask:0xf bank_mask:0xf// 00000000BD2C: 7E5602FA FF0118F9
	v_mov_b32_dpp v44, v249 row_shl:8 row_mask:0xf bank_mask:0xf// 00000000BD34: 7E5802FA FF0108F9
	v_mov_b32_e32 v45, v248                                    // 00000000BD3C: 7E5A03F8
	v_mov_b32_e32 v46, v249                                    // 00000000BD40: 7E5C03F9
	v_cndmask_b32_e64 v248, v45, v41, s[42:43]                 // 00000000BD44: D10000F8 00AA532D
	v_cndmask_b32_e64 v250, v45, v42, s[78:79]                 // 00000000BD4C: D10000FA 013A552D
	v_cndmask_b32_e64 v249, v46, v43, s[42:43]                 // 00000000BD54: D10000F9 00AA572E
	v_cndmask_b32_e64 v251, v46, v44, s[78:79]                 // 00000000BD5C: D10000FB 013A592E
	v_mov_b32_dpp v41, v73 row_shr:4 row_mask:0xf bank_mask:0xf// 00000000BD64: 7E5202FA FF011449
	v_mov_b32_dpp v42, v73 row_shl:4 row_mask:0xf bank_mask:0xf// 00000000BD6C: 7E5402FA FF010449
	v_cndmask_b32_e64 v252, v73, v41, s[44:45]                 // 00000000BD74: D10000FC 00B25349
	v_cndmask_b32_e64 v253, v42, v73, s[44:45]                 // 00000000BD7C: D10000FD 00B2932A
	v_mov_b32_dpp v41, v252 row_shr:8 row_mask:0xf bank_mask:0xf// 00000000BD84: 7E5202FA FF0118FC
	v_mov_b32_dpp v42, v252 row_shl:8 row_mask:0xf bank_mask:0xf// 00000000BD8C: 7E5402FA FF0108FC
	v_mov_b32_dpp v43, v253 row_shr:8 row_mask:0xf bank_mask:0xf// 00000000BD94: 7E5602FA FF0118FD
	v_mov_b32_dpp v44, v253 row_shl:8 row_mask:0xf bank_mask:0xf// 00000000BD9C: 7E5802FA FF0108FD
	v_mov_b32_e32 v45, v252                                    // 00000000BDA4: 7E5A03FC
	v_mov_b32_e32 v46, v253                                    // 00000000BDA8: 7E5C03FD
	v_cndmask_b32_e64 v252, v45, v41, s[42:43]                 // 00000000BDAC: D10000FC 00AA532D
	v_cndmask_b32_e64 v254, v45, v42, s[78:79]                 // 00000000BDB4: D10000FE 013A552D
	v_cndmask_b32_e64 v253, v46, v43, s[42:43]                 // 00000000BDBC: D10000FD 00AA572E
	v_cndmask_b32_e64 v255, v46, v44, s[78:79]                 // 00000000BDC4: D10000FF 013A592E
	v_mul_f32_e32 v144, v55, v144                              // 00000000BDCC: 0B212137
	v_mul_f32_e32 v145, v55, v145                              // 00000000BDD0: 0B232337
	v_mul_f32_e32 v146, v55, v146                              // 00000000BDD4: 0B252537
	v_mul_f32_e32 v147, v55, v147                              // 00000000BDD8: 0B272737
	v_mul_f32_e32 v148, v55, v148                              // 00000000BDDC: 0B292937
	v_mul_f32_e32 v149, v55, v149                              // 00000000BDE0: 0B2B2B37
	v_mul_f32_e32 v150, v55, v150                              // 00000000BDE4: 0B2D2D37
	v_mul_f32_e32 v151, v55, v151                              // 00000000BDE8: 0B2F2F37
	v_mul_f32_e32 v152, v55, v152                              // 00000000BDEC: 0B313137
	v_mul_f32_e32 v153, v55, v153                              // 00000000BDF0: 0B333337
	v_mul_f32_e32 v154, v55, v154                              // 00000000BDF4: 0B353537
	v_mul_f32_e32 v155, v55, v155                              // 00000000BDF8: 0B373737
	v_mul_f32_e32 v156, v55, v156                              // 00000000BDFC: 0B393937
	v_mul_f32_e32 v157, v55, v157                              // 00000000BE00: 0B3B3B37
	v_mul_f32_e32 v158, v55, v158                              // 00000000BE04: 0B3D3D37
	v_mul_f32_e32 v159, v55, v159                              // 00000000BE08: 0B3F3F37
	v_mul_f32_dpp v144, v248, v144 quad_perm:[0,0,0,0] row_mask:0xf bank_mask:0xf// 00000000BE0C: 0B2120FA FF0000F8
	v_mul_f32_dpp v145, v248, v145 quad_perm:[1,1,1,1] row_mask:0xf bank_mask:0xf// 00000000BE14: 0B2322FA FF0055F8
	v_mul_f32_dpp v146, v248, v146 quad_perm:[2,2,2,2] row_mask:0xf bank_mask:0xf// 00000000BE1C: 0B2524FA FF00AAF8
	v_mul_f32_dpp v147, v248, v147 quad_perm:[3,3,3,3] row_mask:0xf bank_mask:0xf// 00000000BE24: 0B2726FA FF00FFF8
	v_mul_f32_dpp v148, v249, v148 quad_perm:[0,0,0,0] row_mask:0xf bank_mask:0xf// 00000000BE2C: 0B2928FA FF0000F9
	v_mul_f32_dpp v149, v249, v149 quad_perm:[1,1,1,1] row_mask:0xf bank_mask:0xf// 00000000BE34: 0B2B2AFA FF0055F9
	v_mul_f32_dpp v150, v249, v150 quad_perm:[2,2,2,2] row_mask:0xf bank_mask:0xf// 00000000BE3C: 0B2D2CFA FF00AAF9
	v_mul_f32_dpp v151, v249, v151 quad_perm:[3,3,3,3] row_mask:0xf bank_mask:0xf// 00000000BE44: 0B2F2EFA FF00FFF9
	v_mul_f32_dpp v152, v250, v152 quad_perm:[0,0,0,0] row_mask:0xf bank_mask:0xf// 00000000BE4C: 0B3130FA FF0000FA
	v_mul_f32_dpp v153, v250, v153 quad_perm:[1,1,1,1] row_mask:0xf bank_mask:0xf// 00000000BE54: 0B3332FA FF0055FA
	v_mul_f32_dpp v154, v250, v154 quad_perm:[2,2,2,2] row_mask:0xf bank_mask:0xf// 00000000BE5C: 0B3534FA FF00AAFA
	v_mul_f32_dpp v155, v250, v155 quad_perm:[3,3,3,3] row_mask:0xf bank_mask:0xf// 00000000BE64: 0B3736FA FF00FFFA
	v_mul_f32_dpp v156, v251, v156 quad_perm:[0,0,0,0] row_mask:0xf bank_mask:0xf// 00000000BE6C: 0B3938FA FF0000FB
	v_mul_f32_dpp v157, v251, v157 quad_perm:[1,1,1,1] row_mask:0xf bank_mask:0xf// 00000000BE74: 0B3B3AFA FF0055FB
	v_mul_f32_dpp v158, v251, v158 quad_perm:[2,2,2,2] row_mask:0xf bank_mask:0xf// 00000000BE7C: 0B3D3CFA FF00AAFB
	v_mul_f32_dpp v159, v251, v159 quad_perm:[3,3,3,3] row_mask:0xf bank_mask:0xf// 00000000BE84: 0B3F3EFA FF00FFFB
	v_mov_b32_e32 v62, v144                                    // 00000000BE8C: 7E7C0390
	v_max3_f32 v62, v144, v145, v62                            // 00000000BE90: D1D3003E 04FB2390
	v_max3_f32 v62, v146, v147, v62                            // 00000000BE98: D1D3003E 04FB2792
	v_max3_f32 v62, v148, v149, v62                            // 00000000BEA0: D1D3003E 04FB2B94
	v_max3_f32 v62, v150, v151, v62                            // 00000000BEA8: D1D3003E 04FB2F96
	v_max3_f32 v62, v152, v153, v62                            // 00000000BEB0: D1D3003E 04FB3398
	v_max3_f32 v62, v154, v155, v62                            // 00000000BEB8: D1D3003E 04FB379A
	v_max3_f32 v62, v156, v157, v62                            // 00000000BEC0: D1D3003E 04FB3B9C
	v_max3_f32 v62, v158, v159, v62                            // 00000000BEC8: D1D3003E 04FB3F9E
	ds_write_b32 v11, v62 offset:16896                         // 00000000BED0: D81A4200 00003E0B
	v_mul_f32_e32 v232, v64, v232                              // 00000000BED8: 0BD1D140
	v_mul_f32_e32 v233, v64, v233                              // 00000000BEDC: 0BD3D340
	v_mul_f32_e32 v234, v64, v234                              // 00000000BEE0: 0BD5D540
	v_mul_f32_e32 v235, v64, v235                              // 00000000BEE4: 0BD7D740
	v_mul_f32_e32 v236, v64, v236                              // 00000000BEE8: 0BD9D940
	v_mul_f32_e32 v237, v64, v237                              // 00000000BEEC: 0BDBDB40
	v_mul_f32_e32 v238, v64, v238                              // 00000000BEF0: 0BDDDD40
	v_mul_f32_e32 v239, v64, v239                              // 00000000BEF4: 0BDFDF40
	s_waitcnt lgkmcnt(0)                                       // 00000000BEF8: BF8CC07F
	s_barrier                                                  // 00000000BEFC: BF8A0000
	ds_read_b32 v80, v10 offset:16896                          // 00000000BF00: D86C4200 5000000A
	ds_read_b32 v81, v10 offset:16960                          // 00000000BF08: D86C4240 5100000A
	ds_read_b32 v82, v10 offset:17024                          // 00000000BF10: D86C4280 5200000A
	ds_read_b32 v83, v10 offset:17088                          // 00000000BF18: D86C42C0 5300000A
	ds_read_b32 v84, v10 offset:17152                          // 00000000BF20: D86C4300 5400000A
	ds_read_b32 v85, v10 offset:17216                          // 00000000BF28: D86C4340 5500000A
	ds_read_b32 v86, v10 offset:17280                          // 00000000BF30: D86C4380 5600000A
	ds_read_b32 v87, v10 offset:17344                          // 00000000BF38: D86C43C0 5700000A
	ds_read_b32 v88, v10 offset:17408                          // 00000000BF40: D86C4400 5800000A
	ds_read_b32 v89, v10 offset:17472                          // 00000000BF48: D86C4440 5900000A
	ds_read_b32 v90, v10 offset:17536                          // 00000000BF50: D86C4480 5A00000A
	ds_read_b32 v91, v10 offset:17600                          // 00000000BF58: D86C44C0 5B00000A
	ds_read_b32 v92, v10 offset:17664                          // 00000000BF60: D86C4500 5C00000A
	ds_read_b32 v93, v10 offset:17728                          // 00000000BF68: D86C4540 5D00000A
	ds_read_b32 v94, v10 offset:17792                          // 00000000BF70: D86C4580 5E00000A
	ds_read_b32 v95, v10 offset:17856                          // 00000000BF78: D86C45C0 5F00000A
	v_mul_f32_e32 v200, v59, v200                              // 00000000BF80: 0B91913B
	v_mul_f32_e32 v201, v59, v201                              // 00000000BF84: 0B93933B
	v_mul_f32_e32 v202, v59, v202                              // 00000000BF88: 0B95953B
	v_mul_f32_e32 v203, v59, v203                              // 00000000BF8C: 0B97973B
	v_mul_f32_e32 v204, v59, v204                              // 00000000BF90: 0B99993B
	v_mul_f32_e32 v205, v59, v205                              // 00000000BF94: 0B9B9B3B
	v_mul_f32_e32 v206, v59, v206                              // 00000000BF98: 0B9D9D3B
	v_mul_f32_e32 v207, v59, v207                              // 00000000BF9C: 0B9F9F3B
	s_waitcnt lgkmcnt(0)                                       // 00000000BFA0: BF8CC07F
	v_max3_f32 v62, v80, v81, v62                              // 00000000BFA4: D1D3003E 04FAA350
	v_max3_f32 v62, v82, v83, v62                              // 00000000BFAC: D1D3003E 04FAA752
	v_max3_f32 v62, v84, v85, v62                              // 00000000BFB4: D1D3003E 04FAAB54
	v_max3_f32 v62, v86, v87, v62                              // 00000000BFBC: D1D3003E 04FAAF56
	v_max3_f32 v62, v88, v89, v62                              // 00000000BFC4: D1D3003E 04FAB358
	v_max3_f32 v62, v90, v91, v62                              // 00000000BFCC: D1D3003E 04FAB75A
	v_max3_f32 v62, v92, v93, v62                              // 00000000BFD4: D1D3003E 04FABB5C
	v_max3_f32 v62, v94, v95, v62                              // 00000000BFDC: D1D3003E 04FABF5E
	v_mov_b32_e32 v41, 0xff800000                              // 00000000BFE4: 7E5202FF FF800000
	v_cmp_eq_u32_e64 s[40:41], v41, v15                        // 00000000BFEC: D0CA0028 00021F29
	s_nop 1                                                    // 00000000BFF4: BF800001
	v_max_f32_e32 v18, v62, v15                                // 00000000BFF8: 16241F3E
	v_mul_f32_e32 v67, s64, v18                                // 00000000BFFC: 0A862440
	v_fma_f32 v144, v144, s64, -v67                            // 00000000C000: D1CB0090 850C8190
	v_fma_f32 v145, v145, s64, -v67                            // 00000000C008: D1CB0091 850C8191
	v_fma_f32 v146, v146, s64, -v67                            // 00000000C010: D1CB0092 850C8192
	v_fma_f32 v147, v147, s64, -v67                            // 00000000C018: D1CB0093 850C8193
	v_fma_f32 v148, v148, s64, -v67                            // 00000000C020: D1CB0094 850C8194
	v_fma_f32 v149, v149, s64, -v67                            // 00000000C028: D1CB0095 850C8195
	v_fma_f32 v150, v150, s64, -v67                            // 00000000C030: D1CB0096 850C8196
	v_fma_f32 v151, v151, s64, -v67                            // 00000000C038: D1CB0097 850C8197
	v_fma_f32 v152, v152, s64, -v67                            // 00000000C040: D1CB0098 850C8198
	v_fma_f32 v153, v153, s64, -v67                            // 00000000C048: D1CB0099 850C8199
	v_fma_f32 v154, v154, s64, -v67                            // 00000000C050: D1CB009A 850C819A
	v_fma_f32 v155, v155, s64, -v67                            // 00000000C058: D1CB009B 850C819B
	v_fma_f32 v156, v156, s64, -v67                            // 00000000C060: D1CB009C 850C819C
	v_fma_f32 v157, v157, s64, -v67                            // 00000000C068: D1CB009D 850C819D
	v_fma_f32 v158, v158, s64, -v67                            // 00000000C070: D1CB009E 850C819E
	v_fma_f32 v159, v159, s64, -v67                            // 00000000C078: D1CB009F 850C819F
	v_exp_f32_e32 v144, v144                                   // 00000000C080: 7F204190
	v_exp_f32_e32 v145, v145                                   // 00000000C084: 7F224191
	v_exp_f32_e32 v146, v146                                   // 00000000C088: 7F244192
	v_exp_f32_e32 v147, v147                                   // 00000000C08C: 7F264193
	v_exp_f32_e32 v148, v148                                   // 00000000C090: 7F284194
	v_exp_f32_e32 v149, v149                                   // 00000000C094: 7F2A4195
	v_exp_f32_e32 v150, v150                                   // 00000000C098: 7F2C4196
	v_exp_f32_e32 v151, v151                                   // 00000000C09C: 7F2E4197
	v_exp_f32_e32 v152, v152                                   // 00000000C0A0: 7F304198
	v_exp_f32_e32 v153, v153                                   // 00000000C0A4: 7F324199
	v_exp_f32_e32 v154, v154                                   // 00000000C0A8: 7F34419A
	v_exp_f32_e32 v155, v155                                   // 00000000C0AC: 7F36419B
	v_exp_f32_e32 v156, v156                                   // 00000000C0B0: 7F38419C
	v_exp_f32_e32 v157, v157                                   // 00000000C0B4: 7F3A419D
	v_exp_f32_e32 v158, v158                                   // 00000000C0B8: 7F3C419E
	v_exp_f32_e32 v159, v159                                   // 00000000C0BC: 7F3E419F
	v_mul_f32_dpp v240, v252, v144 quad_perm:[0,0,0,0] row_mask:0xf bank_mask:0xf// 00000000C0C0: 0BE120FA FF0000FC
	v_mul_f32_dpp v241, v252, v145 quad_perm:[1,1,1,1] row_mask:0xf bank_mask:0xf// 00000000C0C8: 0BE322FA FF0055FC
	v_mul_f32_dpp v242, v252, v146 quad_perm:[2,2,2,2] row_mask:0xf bank_mask:0xf// 00000000C0D0: 0BE524FA FF00AAFC
	v_mul_f32_dpp v243, v252, v147 quad_perm:[3,3,3,3] row_mask:0xf bank_mask:0xf// 00000000C0D8: 0BE726FA FF00FFFC
	v_mul_f32_dpp v244, v253, v148 quad_perm:[0,0,0,0] row_mask:0xf bank_mask:0xf// 00000000C0E0: 0BE928FA FF0000FD
	v_mul_f32_dpp v245, v253, v149 quad_perm:[1,1,1,1] row_mask:0xf bank_mask:0xf// 00000000C0E8: 0BEB2AFA FF0055FD
	v_mul_f32_dpp v246, v253, v150 quad_perm:[2,2,2,2] row_mask:0xf bank_mask:0xf// 00000000C0F0: 0BED2CFA FF00AAFD
	v_mul_f32_dpp v247, v253, v151 quad_perm:[3,3,3,3] row_mask:0xf bank_mask:0xf// 00000000C0F8: 0BEF2EFA FF00FFFD
	v_mul_f32_dpp v248, v254, v152 quad_perm:[0,0,0,0] row_mask:0xf bank_mask:0xf// 00000000C100: 0BF130FA FF0000FE
	v_mul_f32_dpp v249, v254, v153 quad_perm:[1,1,1,1] row_mask:0xf bank_mask:0xf// 00000000C108: 0BF332FA FF0055FE
	v_mul_f32_dpp v250, v254, v154 quad_perm:[2,2,2,2] row_mask:0xf bank_mask:0xf// 00000000C110: 0BF534FA FF00AAFE
	v_mul_f32_dpp v251, v254, v155 quad_perm:[3,3,3,3] row_mask:0xf bank_mask:0xf// 00000000C118: 0BF736FA FF00FFFE
	v_mul_f32_dpp v252, v255, v156 quad_perm:[0,0,0,0] row_mask:0xf bank_mask:0xf// 00000000C120: 0BF938FA FF0000FF
	v_mul_f32_dpp v253, v255, v157 quad_perm:[1,1,1,1] row_mask:0xf bank_mask:0xf// 00000000C128: 0BFB3AFA FF0055FF
	v_mul_f32_dpp v254, v255, v158 quad_perm:[2,2,2,2] row_mask:0xf bank_mask:0xf// 00000000C130: 0BFD3CFA FF00AAFF
	v_mul_f32_dpp v255, v255, v159 quad_perm:[3,3,3,3] row_mask:0xf bank_mask:0xf// 00000000C138: 0BFF3EFA FF00FFFF
	v_mov_b32_e32 v62, 0x358637bd                              // 00000000C140: 7E7C02FF 358637BD
	v_max3_f32 v62, |v240|, |v241|, v62                        // 00000000C148: D1D3033E 04FBE3F0
	v_max3_f32 v62, |v242|, |v243|, v62                        // 00000000C150: D1D3033E 04FBE7F2
	v_max3_f32 v62, |v244|, |v245|, v62                        // 00000000C158: D1D3033E 04FBEBF4
	v_max3_f32 v62, |v246|, |v247|, v62                        // 00000000C160: D1D3033E 04FBEFF6
	v_max3_f32 v62, |v248|, |v249|, v62                        // 00000000C168: D1D3033E 04FBF3F8
	v_max3_f32 v62, |v250|, |v251|, v62                        // 00000000C170: D1D3033E 04FBF7FA
	v_max3_f32 v62, |v252|, |v253|, v62                        // 00000000C178: D1D3033E 04FBFBFC
	v_max3_f32 v62, |v254|, |v255|, v62                        // 00000000C180: D1D3033E 04FBFFFE
	ds_write_b32 v11, v62 offset:20992                         // 00000000C188: D81A5200 00003E0B
	v_sub_f32_e32 v64, v15, v18                                // 00000000C190: 0480250F
	v_cndmask_b32_e64 v64, v64, 0, s[40:41]                    // 00000000C194: D1000040 00A10140
	v_mov_b32_e32 v15, v18                                     // 00000000C19C: 7E1E0312
	v_mul_f32_e32 v64, s64, v64                                // 00000000C1A0: 0A808040
	v_exp_f32_e32 v64, v64                                     // 00000000C1A4: 7E804140
	s_waitcnt lgkmcnt(0)                                       // 00000000C1A8: BF8CC07F
	s_barrier                                                  // 00000000C1AC: BF8A0000
	ds_read_b32 v80, v10 offset:20992                          // 00000000C1B0: D86C5200 5000000A
	ds_read_b32 v81, v10 offset:21056                          // 00000000C1B8: D86C5240 5100000A
	ds_read_b32 v82, v10 offset:21120                          // 00000000C1C0: D86C5280 5200000A
	ds_read_b32 v83, v10 offset:21184                          // 00000000C1C8: D86C52C0 5300000A
	ds_read_b32 v84, v10 offset:21248                          // 00000000C1D0: D86C5300 5400000A
	ds_read_b32 v85, v10 offset:21312                          // 00000000C1D8: D86C5340 5500000A
	ds_read_b32 v86, v10 offset:21376                          // 00000000C1E0: D86C5380 5600000A
	ds_read_b32 v87, v10 offset:21440                          // 00000000C1E8: D86C53C0 5700000A
	ds_read_b32 v88, v10 offset:21504                          // 00000000C1F0: D86C5400 5800000A
	ds_read_b32 v89, v10 offset:21568                          // 00000000C1F8: D86C5440 5900000A
	ds_read_b32 v90, v10 offset:21632                          // 00000000C200: D86C5480 5A00000A
	ds_read_b32 v91, v10 offset:21696                          // 00000000C208: D86C54C0 5B00000A
	ds_read_b32 v92, v10 offset:21760                          // 00000000C210: D86C5500 5C00000A
	ds_read_b32 v93, v10 offset:21824                          // 00000000C218: D86C5540 5D00000A
	ds_read_b32 v94, v10 offset:21888                          // 00000000C220: D86C5580 5E00000A
	ds_read_b32 v95, v10 offset:21952                          // 00000000C228: D86C55C0 5F00000A
	v_mul_f32_e32 v48, v64, v48                                // 00000000C230: 0A606140
	v_mov_b32_e32 v18, v144                                    // 00000000C234: 7E240390
	v_add_f32_e32 v18, v145, v18                               // 00000000C238: 02242591
	v_add_f32_e32 v18, v146, v18                               // 00000000C23C: 02242592
	v_add_f32_e32 v18, v147, v18                               // 00000000C240: 02242593
	v_add_f32_e32 v18, v148, v18                               // 00000000C244: 02242594
	v_add_f32_e32 v18, v149, v18                               // 00000000C248: 02242595
	v_add_f32_e32 v18, v150, v18                               // 00000000C24C: 02242596
	v_add_f32_e32 v18, v151, v18                               // 00000000C250: 02242597
	v_add_f32_e32 v18, v152, v18                               // 00000000C254: 02242598
	v_add_f32_e32 v18, v153, v18                               // 00000000C258: 02242599
	v_add_f32_e32 v18, v154, v18                               // 00000000C25C: 0224259A
	v_add_f32_e32 v18, v155, v18                               // 00000000C260: 0224259B
	v_add_f32_e32 v18, v156, v18                               // 00000000C264: 0224259C
	v_add_f32_e32 v18, v157, v18                               // 00000000C268: 0224259D
	v_add_f32_e32 v18, v158, v18                               // 00000000C26C: 0224259E
	v_add_f32_e32 v18, v159, v18                               // 00000000C270: 0224259F
	v_add_f32_e32 v48, v18, v48                                // 00000000C274: 02606112
	s_waitcnt lgkmcnt(0)                                       // 00000000C278: BF8CC07F
	v_max3_f32 v62, |v80|, |v81|, v62                          // 00000000C27C: D1D3033E 04FAA350
	v_max3_f32 v62, |v82|, |v83|, v62                          // 00000000C284: D1D3033E 04FAA752
	v_max3_f32 v62, |v84|, |v85|, v62                          // 00000000C28C: D1D3033E 04FAAB54
	v_max3_f32 v62, |v86|, |v87|, v62                          // 00000000C294: D1D3033E 04FAAF56
	v_max3_f32 v62, |v88|, |v89|, v62                          // 00000000C29C: D1D3033E 04FAB358
	v_max3_f32 v62, |v90|, |v91|, v62                          // 00000000C2A4: D1D3033E 04FAB75A
	v_max3_f32 v62, |v92|, |v93|, v62                          // 00000000C2AC: D1D3033E 04FABB5C
	v_max3_f32 v62, |v94|, |v95|, v62                          // 00000000C2B4: D1D3033E 04FABF5E
	s_nop 2                                                    // 00000000C2BC: BF800002
	v_rcp_f32_e32 v62, v62                                     // 00000000C2C0: 7E7C453E
	s_nop 1                                                    // 00000000C2C4: BF800001
	v_mul_f32_e32 v62, 0x43700000, v62                         // 00000000C2C8: 0A7C7CFF 43700000
	v_mul_f32_e32 v144, v62, v240                              // 00000000C2D0: 0B21E13E
	v_mul_f32_e32 v145, v62, v241                              // 00000000C2D4: 0B23E33E
	v_mul_f32_e32 v146, v62, v242                              // 00000000C2D8: 0B25E53E
	v_mul_f32_e32 v147, v62, v243                              // 00000000C2DC: 0B27E73E
	v_mul_f32_e32 v148, v62, v244                              // 00000000C2E0: 0B29E93E
	v_mul_f32_e32 v149, v62, v245                              // 00000000C2E4: 0B2BEB3E
	v_mul_f32_e32 v150, v62, v246                              // 00000000C2E8: 0B2DED3E
	v_mul_f32_e32 v151, v62, v247                              // 00000000C2EC: 0B2FEF3E
	v_mul_f32_e32 v152, v62, v248                              // 00000000C2F0: 0B31F13E
	v_mul_f32_e32 v153, v62, v249                              // 00000000C2F4: 0B33F33E
	v_mul_f32_e32 v154, v62, v250                              // 00000000C2F8: 0B35F53E
	v_mul_f32_e32 v155, v62, v251                              // 00000000C2FC: 0B37F73E
	v_mul_f32_e32 v156, v62, v252                              // 00000000C300: 0B39F93E
	v_mul_f32_e32 v157, v62, v253                              // 00000000C304: 0B3BFB3E
	v_mul_f32_e32 v158, v62, v254                              // 00000000C308: 0B3DFD3E
	v_mul_f32_e32 v159, v62, v255                              // 00000000C30C: 0B3FFF3E
	v_cvt_pk_fp8_f32 v144, v144, v145                          // 00000000C310: D2A20090 00032390
	v_cvt_pk_fp8_f32 v144, v146, v147 op_sel:[0,0,1]           // 00000000C318: D2A24090 00032792
	v_cvt_pk_fp8_f32 v145, v148, v149                          // 00000000C320: D2A20091 00032B94
	v_cvt_pk_fp8_f32 v145, v150, v151 op_sel:[0,0,1]           // 00000000C328: D2A24091 00032F96
	v_cvt_pk_fp8_f32 v146, v152, v153                          // 00000000C330: D2A20092 00033398
	v_cvt_pk_fp8_f32 v146, v154, v155 op_sel:[0,0,1]           // 00000000C338: D2A24092 0003379A
	v_cvt_pk_fp8_f32 v147, v156, v157                          // 00000000C340: D2A20093 00033B9C
	v_cvt_pk_fp8_f32 v147, v158, v159 op_sel:[0,0,1]           // 00000000C348: D2A24093 00033F9E
	ds_write_b32 v13, v144 offset:29184                        // 00000000C350: D81A7200 0000900D
	ds_write_b32 v13, v145 offset:30208                        // 00000000C358: D81A7600 0000910D
	ds_write_b32 v13, v146 offset:31232                        // 00000000C360: D81A7A00 0000920D
	ds_write_b32 v13, v147 offset:32256                        // 00000000C368: D81A7E00 0000930D
	v_add_f32_e32 v232, v232, v200                             // 00000000C370: 03D191E8
	v_add_f32_e32 v233, v233, v201                             // 00000000C374: 03D393E9
	v_add_f32_e32 v234, v234, v202                             // 00000000C378: 03D595EA
	v_add_f32_e32 v235, v235, v203                             // 00000000C37C: 03D797EB
	v_add_f32_e32 v236, v236, v204                             // 00000000C380: 03D999EC
	v_add_f32_e32 v237, v237, v205                             // 00000000C384: 03DB9BED
	v_add_f32_e32 v238, v238, v206                             // 00000000C388: 03DD9DEE
	v_add_f32_e32 v239, v239, v207                             // 00000000C38C: 03DF9FEF
	v_rcp_f32_e32 v59, v62                                     // 00000000C390: 7E76453E
	s_waitcnt lgkmcnt(0)                                       // 00000000C394: BF8CC07F
	s_barrier                                                  // 00000000C398: BF8A0000
	ds_read_b64 v[144:145], v12 offset:29184                   // 00000000C39C: D8EC7200 9000000C
	ds_read_b64 v[146:147], v12 offset:29312                   // 00000000C3A4: D8EC7280 9200000C
	ds_read_b64 v[148:149], v12 offset:30208                   // 00000000C3AC: D8EC7600 9400000C
	ds_read_b64 v[150:151], v12 offset:30336                   // 00000000C3B4: D8EC7680 9600000C
	ds_read_b64 v[152:153], v12 offset:31232                   // 00000000C3BC: D8EC7A00 9800000C
	ds_read_b64 v[154:155], v12 offset:31360                   // 00000000C3C4: D8EC7A80 9A00000C
	ds_read_b64 v[156:157], v12 offset:32256                   // 00000000C3CC: D8EC7E00 9C00000C
	ds_read_b64 v[158:159], v12 offset:32384                   // 00000000C3D4: D8EC7E80 9E00000C
	s_waitcnt vmcnt(15)                                        // 00000000C3DC: BF8C0F7F
	v_mfma_f32_16x16x32_fp8_fp8 v[192:195], a[96:97], v[128:129], 0// 00000000C3E0: D3F300C0 0A030160
	v_mfma_f32_16x16x32_fp8_fp8 v[192:195], a[98:99], v[130:131], v[192:195]// 00000000C3E8: D3F300C0 0F030562
	buffer_load_dwordx4 a[80:83], v33, s[20:23], 0 offen offset:1024// 00000000C3F0: E05C1400 80855021
	v_mfma_f32_16x16x32_fp8_fp8 v[192:195], a[100:101], v[132:133], v[192:195]// 00000000C3F8: D3F300C0 0F030964
	v_mfma_f32_16x16x32_fp8_fp8 v[192:195], a[102:103], v[134:135], v[192:195]// 00000000C400: D3F300C0 0F030D66
	v_mfma_f32_16x16x32_fp8_fp8 v[192:195], a[104:105], v[136:137], v[192:195]// 00000000C408: D3F300C0 0F031168
	v_mfma_f32_16x16x32_fp8_fp8 v[192:195], a[106:107], v[138:139], v[192:195]// 00000000C410: D3F300C0 0F03156A
	buffer_load_dwordx4 a[84:87], v34, s[20:23], 0 offen offset:1024// 00000000C418: E05C1400 80855422
	v_mfma_f32_16x16x32_fp8_fp8 v[192:195], a[108:109], v[140:141], v[192:195]// 00000000C420: D3F300C0 0F03196C
	v_mfma_f32_16x16x32_fp8_fp8 v[192:195], a[110:111], v[142:143], v[192:195]// 00000000C428: D3F300C0 0F031D6E
	v_mfma_f32_16x16x32_fp8_fp8 v[196:199], a[112:113], v[128:129], 0// 00000000C430: D3F300C4 0A030170
	v_mfma_f32_16x16x32_fp8_fp8 v[196:199], a[114:115], v[130:131], v[196:199]// 00000000C438: D3F300C4 0F130572
	buffer_load_dwordx4 a[88:91], v35, s[20:23], 0 offen offset:1024// 00000000C440: E05C1400 80855823
	v_mfma_f32_16x16x32_fp8_fp8 v[196:199], a[116:117], v[132:133], v[196:199]// 00000000C448: D3F300C4 0F130974
	v_mfma_f32_16x16x32_fp8_fp8 v[196:199], a[118:119], v[134:135], v[196:199]// 00000000C450: D3F300C4 0F130D76
	v_mfma_f32_16x16x32_fp8_fp8 v[196:199], a[120:121], v[136:137], v[196:199]// 00000000C458: D3F300C4 0F131178
	v_mfma_f32_16x16x32_fp8_fp8 v[196:199], a[122:123], v[138:139], v[196:199]// 00000000C460: D3F300C4 0F13157A
	buffer_load_dwordx4 a[92:95], v36, s[20:23], 0 offen offset:1024// 00000000C468: E05C1400 80855C24
	v_mfma_f32_16x16x32_fp8_fp8 v[196:199], a[124:125], v[140:141], v[196:199]// 00000000C470: D3F300C4 0F13197C
	s_lshr_b32 s57, s70, 4                                     // 00000000C478: 8F398446
	s_add_u32 s57, 48, s57                                     // 00000000C47C: 803939B0
	v_mfma_f32_16x16x32_fp8_fp8 v[196:199], a[126:127], v[142:143], v[196:199]// 00000000C480: D3F300C4 0F131D7E
	s_cmp_ge_u32 s57, s73                                      // 00000000C488: BF094939
	s_cselect_b32 s56, 0, s56                                  // 00000000C48C: 85383880
	v_mfma_f32_16x16x32_fp8_fp8 v[200:203], a[96:97], v[144:145], 0// 00000000C490: D3F300C8 0A032160
	v_mfma_f32_16x16x32_fp8_fp8 v[200:203], a[98:99], v[146:147], v[200:203]// 00000000C498: D3F300C8 0F232562
	v_mfma_f32_16x16x32_fp8_fp8 v[200:203], a[100:101], v[148:149], v[200:203]// 00000000C4A0: D3F300C8 0F232964
	v_mfma_f32_16x16x32_fp8_fp8 v[200:203], a[102:103], v[150:151], v[200:203]// 00000000C4A8: D3F300C8 0F232D66
	v_mfma_f32_16x16x32_fp8_fp8 v[200:203], a[104:105], v[152:153], v[200:203]// 00000000C4B0: D3F300C8 0F233168
	v_mfma_f32_16x16x32_fp8_fp8 v[200:203], a[106:107], v[154:155], v[200:203]// 00000000C4B8: D3F300C8 0F23356A
	v_mfma_f32_16x16x32_fp8_fp8 v[200:203], a[108:109], v[156:157], v[200:203]// 00000000C4C0: D3F300C8 0F23396C
	v_mfma_f32_16x16x32_fp8_fp8 v[200:203], a[110:111], v[158:159], v[200:203]// 00000000C4C8: D3F300C8 0F233D6E
	v_mfma_f32_16x16x32_fp8_fp8 v[204:207], a[112:113], v[144:145], 0// 00000000C4D0: D3F300CC 0A032170
	v_mfma_f32_16x16x32_fp8_fp8 v[204:207], a[114:115], v[146:147], v[204:207]// 00000000C4D8: D3F300CC 0F332572
	v_mfma_f32_16x16x32_fp8_fp8 v[204:207], a[116:117], v[148:149], v[204:207]// 00000000C4E0: D3F300CC 0F332974
	v_mfma_f32_16x16x32_fp8_fp8 v[204:207], a[118:119], v[150:151], v[204:207]// 00000000C4E8: D3F300CC 0F332D76
	v_mfma_f32_16x16x32_fp8_fp8 v[204:207], a[120:121], v[152:153], v[204:207]// 00000000C4F0: D3F300CC 0F333178
	v_mfma_f32_16x16x32_fp8_fp8 v[204:207], a[122:123], v[154:155], v[204:207]// 00000000C4F8: D3F300CC 0F33357A
	v_mfma_f32_16x16x32_fp8_fp8 v[204:207], a[124:125], v[156:157], v[204:207]// 00000000C500: D3F300CC 0F33397C
	v_mfma_f32_16x16x32_fp8_fp8 v[204:207], a[126:127], v[158:159], v[204:207]// 00000000C508: D3F300CC 0F333D7E
	v_add_u32_e32 v1, s56, v1                                  // 00000000C510: 68020238
	s_addk_i32 s70, 0x100                                      // 00000000C514: B7460100
	s_cmp_lt_i32 s70, s71                                      // 00000000C518: BF044746
	s_cbranch_scc0 label_28C9                                  // 00000000C51C: BF840001
	s_branch label_204C                                        // 00000000C520: BF82F783

000000000000c524 <label_28C9>:
	s_nop 0                                                    // 00000000C524: BF800000
	s_nop 0                                                    // 00000000C528: BF800000
	s_branch label_3149                                        // 00000000C52C: BF82087D

000000000000c530 <label_28CC>:
	s_waitcnt vmcnt(8) lgkmcnt(0)                              // 00000000C530: BF8C0078
	v_mul_u32_u24_dpp v41, v20, v68 row_newbcast:0 row_mask:0xf bank_mask:0xf// 00000000C534: 105288FA FF015014
	v_mul_u32_u24_dpp v42, v20, v68 row_newbcast:4 row_mask:0xf bank_mask:0xf// 00000000C53C: 105488FA FF015414
	v_mul_u32_u24_dpp v43, v20, v68 row_newbcast:8 row_mask:0xf bank_mask:0xf// 00000000C544: 105688FA FF015814
	v_mul_u32_u24_dpp v44, v20, v68 row_newbcast:12 row_mask:0xf bank_mask:0xf// 00000000C54C: 105888FA FF015C14
	v_add_u32_e32 v29, v41, v6                                 // 00000000C554: 683A0D29
	v_add_u32_e32 v30, v42, v6                                 // 00000000C558: 683C0D2A
	v_add_u32_e32 v31, v43, v6                                 // 00000000C55C: 683E0D2B
	v_add_u32_e32 v32, v44, v6                                 // 00000000C560: 68400D2C
	v_mul_u32_u24_dpp v41, v20, v78 quad_perm:[0,0,0,0] row_mask:0xf bank_mask:0xf// 00000000C564: 10529CFA FF000014
	v_add_u32_e32 v3, v41, v74                                 // 00000000C56C: 68069529
	v_mul_u32_u24_dpp v41, v20, v78 quad_perm:[0,0,0,0] row_mask:0xf bank_mask:0xf// 00000000C570: 10529CFA FF000014
	v_add_u32_e32 v71, v41, v75                                // 00000000C578: 688E9729
	v_mfma_f32_16x16x32_fp8_fp8 v[128:131], a[0:1], v[96:97], 0// 00000000C57C: D3F30080 0A02C100
	buffer_load_dwordx4 a[32:35], v29, s[16:19], 0 offen       // 00000000C584: E05C1000 8084201D
	v_mfma_f32_16x16x32_fp8_fp8 v[128:131], a[2:3], v[98:99], v[128:131]// 00000000C58C: D3F30080 0E02C502
	v_mfma_f32_16x16x32_fp8_fp8 v[128:131], a[4:5], v[100:101], v[128:131]// 00000000C594: D3F30080 0E02C904
	buffer_load_dword v19, v1, s[24:27], 0 offen               // 00000000C59C: E0501000 80061301
	v_mfma_f32_16x16x32_fp8_fp8 v[128:131], a[6:7], v[102:103], v[128:131]// 00000000C5A4: D3F30080 0E02CD06
	v_mfma_f32_16x16x32_fp8_fp8 v[132:135], a[8:9], v[96:97], 0// 00000000C5AC: D3F30084 0A02C108
	buffer_load_dwordx4 a[36:39], v29, s[16:19], 0 offen offset:1024// 00000000C5B4: E05C1400 8084241D
	v_mfma_f32_16x16x32_fp8_fp8 v[132:135], a[10:11], v[98:99], v[132:135]// 00000000C5BC: D3F30084 0E12C50A
	v_mfma_f32_16x16x32_fp8_fp8 v[132:135], a[12:13], v[100:101], v[132:135]// 00000000C5C4: D3F30084 0E12C90C
	v_mfma_f32_16x16x32_fp8_fp8 v[132:135], a[14:15], v[102:103], v[132:135]// 00000000C5CC: D3F30084 0E12CD0E
	v_mfma_f32_16x16x32_fp8_fp8 v[136:139], a[16:17], v[96:97], 0// 00000000C5D4: D3F30088 0A02C110
	buffer_load_dwordx4 a[40:43], v30, s[16:19], 0 offen       // 00000000C5DC: E05C1000 8084281E
	v_mfma_f32_16x16x32_fp8_fp8 v[136:139], a[18:19], v[98:99], v[136:139]// 00000000C5E4: D3F30088 0E22C512
	v_mfma_f32_16x16x32_fp8_fp8 v[136:139], a[20:21], v[100:101], v[136:139]// 00000000C5EC: D3F30088 0E22C914
	v_mfma_f32_16x16x32_fp8_fp8 v[136:139], a[22:23], v[102:103], v[136:139]// 00000000C5F4: D3F30088 0E22CD16
	v_mfma_f32_16x16x32_fp8_fp8 v[140:143], a[24:25], v[96:97], 0// 00000000C5FC: D3F3008C 0A02C118
	buffer_load_dwordx4 a[44:47], v30, s[16:19], 0 offen offset:1024// 00000000C604: E05C1400 80842C1E
	v_mfma_f32_16x16x32_fp8_fp8 v[140:143], a[26:27], v[98:99], v[140:143]// 00000000C60C: D3F3008C 0E32C51A
	v_mfma_f32_16x16x32_fp8_fp8 v[140:143], a[28:29], v[100:101], v[140:143]// 00000000C614: D3F3008C 0E32C91C
	v_mfma_f32_16x16x32_fp8_fp8 v[140:143], a[30:31], v[102:103], v[140:143]// 00000000C61C: D3F3008C 0E32CD1E
	v_mfma_f32_16x16x32_fp8_fp8 v[144:147], a[0:1], v[104:105], 0// 00000000C624: D3F30090 0A02D100
	v_mfma_f32_16x16x32_fp8_fp8 v[144:147], a[2:3], v[106:107], v[144:147]// 00000000C62C: D3F30090 0E42D502
	v_mfma_f32_16x16x32_fp8_fp8 v[144:147], a[4:5], v[108:109], v[144:147]// 00000000C634: D3F30090 0E42D904
	v_mfma_f32_16x16x32_fp8_fp8 v[144:147], a[6:7], v[110:111], v[144:147]// 00000000C63C: D3F30090 0E42DD06
	v_mfma_f32_16x16x32_fp8_fp8 v[148:151], a[8:9], v[104:105], 0// 00000000C644: D3F30094 0A02D108
	v_mfma_f32_16x16x32_fp8_fp8 v[148:151], a[10:11], v[106:107], v[148:151]// 00000000C64C: D3F30094 0E52D50A
	v_mfma_f32_16x16x32_fp8_fp8 v[148:151], a[12:13], v[108:109], v[148:151]// 00000000C654: D3F30094 0E52D90C
	v_mfma_f32_16x16x32_fp8_fp8 v[148:151], a[14:15], v[110:111], v[148:151]// 00000000C65C: D3F30094 0E52DD0E
	v_mfma_f32_16x16x32_fp8_fp8 v[152:155], a[16:17], v[104:105], 0// 00000000C664: D3F30098 0A02D110
	v_mfma_f32_16x16x32_fp8_fp8 v[152:155], a[18:19], v[106:107], v[152:155]// 00000000C66C: D3F30098 0E62D512
	v_mfma_f32_16x16x32_fp8_fp8 v[152:155], a[20:21], v[108:109], v[152:155]// 00000000C674: D3F30098 0E62D914
	v_mfma_f32_16x16x32_fp8_fp8 v[152:155], a[22:23], v[110:111], v[152:155]// 00000000C67C: D3F30098 0E62DD16
	v_mfma_f32_16x16x32_fp8_fp8 v[156:159], a[24:25], v[104:105], 0// 00000000C684: D3F3009C 0A02D118
	v_mfma_f32_16x16x32_fp8_fp8 v[156:159], a[26:27], v[106:107], v[156:159]// 00000000C68C: D3F3009C 0E72D51A
	v_mfma_f32_16x16x32_fp8_fp8 v[156:159], a[28:29], v[108:109], v[156:159]// 00000000C694: D3F3009C 0E72D91C
	v_mfma_f32_16x16x32_fp8_fp8 v[156:159], a[30:31], v[110:111], v[156:159]// 00000000C69C: D3F3009C 0E72DD1E
	buffer_load_dword v53, v3, s[32:35], 0 offen               // 00000000C6A4: E0501000 80083503
	v_mov_b32_dpp v41, v52 row_shr:4 row_mask:0xf bank_mask:0xf// 00000000C6AC: 7E5202FA FF011434
	v_mov_b32_dpp v42, v52 row_shl:4 row_mask:0xf bank_mask:0xf// 00000000C6B4: 7E5402FA FF010434
	v_cndmask_b32_e64 v248, v52, v41, s[44:45]                 // 00000000C6BC: D10000F8 00B25334
	v_cndmask_b32_e64 v249, v42, v52, s[44:45]                 // 00000000C6C4: D10000F9 00B2692A
	v_mov_b32_dpp v41, v248 row_shr:8 row_mask:0xf bank_mask:0xf// 00000000C6CC: 7E5202FA FF0118F8
	v_mov_b32_dpp v42, v248 row_shl:8 row_mask:0xf bank_mask:0xf// 00000000C6D4: 7E5402FA FF0108F8
	v_mov_b32_dpp v43, v249 row_shr:8 row_mask:0xf bank_mask:0xf// 00000000C6DC: 7E5602FA FF0118F9
	v_mov_b32_dpp v44, v249 row_shl:8 row_mask:0xf bank_mask:0xf// 00000000C6E4: 7E5802FA FF0108F9
	v_mov_b32_e32 v45, v248                                    // 00000000C6EC: 7E5A03F8
	v_mov_b32_e32 v46, v249                                    // 00000000C6F0: 7E5C03F9
	v_cndmask_b32_e64 v248, v45, v41, s[42:43]                 // 00000000C6F4: D10000F8 00AA532D
	v_cndmask_b32_e64 v250, v45, v42, s[78:79]                 // 00000000C6FC: D10000FA 013A552D
	v_cndmask_b32_e64 v249, v46, v43, s[42:43]                 // 00000000C704: D10000F9 00AA572E
	v_cndmask_b32_e64 v251, v46, v44, s[78:79]                 // 00000000C70C: D10000FB 013A592E
	v_mov_b32_dpp v41, v72 row_shr:4 row_mask:0xf bank_mask:0xf// 00000000C714: 7E5202FA FF011448
	v_mov_b32_dpp v42, v72 row_shl:4 row_mask:0xf bank_mask:0xf// 00000000C71C: 7E5402FA FF010448
	v_cndmask_b32_e64 v252, v72, v41, s[44:45]                 // 00000000C724: D10000FC 00B25348
	v_cndmask_b32_e64 v253, v42, v72, s[44:45]                 // 00000000C72C: D10000FD 00B2912A
	v_mov_b32_dpp v41, v252 row_shr:8 row_mask:0xf bank_mask:0xf// 00000000C734: 7E5202FA FF0118FC
	v_mov_b32_dpp v42, v252 row_shl:8 row_mask:0xf bank_mask:0xf// 00000000C73C: 7E5402FA FF0108FC
	v_mov_b32_dpp v43, v253 row_shr:8 row_mask:0xf bank_mask:0xf// 00000000C744: 7E5602FA FF0118FD
	v_mov_b32_dpp v44, v253 row_shl:8 row_mask:0xf bank_mask:0xf// 00000000C74C: 7E5802FA FF0108FD
	v_mov_b32_e32 v45, v252                                    // 00000000C754: 7E5A03FC
	v_mov_b32_e32 v46, v253                                    // 00000000C758: 7E5C03FD
	v_cndmask_b32_e64 v252, v45, v41, s[42:43]                 // 00000000C75C: D10000FC 00AA532D
	v_cndmask_b32_e64 v254, v45, v42, s[78:79]                 // 00000000C764: D10000FE 013A552D
	v_cndmask_b32_e64 v253, v46, v43, s[42:43]                 // 00000000C76C: D10000FD 00AA572E
	v_cndmask_b32_e64 v255, v46, v44, s[78:79]                 // 00000000C774: D10000FF 013A592E
	buffer_load_dword v73, v71, s[36:39], 0 offen              // 00000000C77C: E0501000 80094947
	v_mul_f32_e32 v128, v54, v128                              // 00000000C784: 0B010136
	v_mul_f32_e32 v129, v54, v129                              // 00000000C788: 0B030336
	v_mul_f32_e32 v130, v54, v130                              // 00000000C78C: 0B050536
	v_mul_f32_e32 v131, v54, v131                              // 00000000C790: 0B070736
	v_mul_f32_e32 v132, v54, v132                              // 00000000C794: 0B090936
	v_mul_f32_e32 v133, v54, v133                              // 00000000C798: 0B0B0B36
	v_mul_f32_e32 v134, v54, v134                              // 00000000C79C: 0B0D0D36
	v_mul_f32_e32 v135, v54, v135                              // 00000000C7A0: 0B0F0F36
	v_mul_f32_e32 v136, v54, v136                              // 00000000C7A4: 0B111136
	v_mul_f32_e32 v137, v54, v137                              // 00000000C7A8: 0B131336
	v_mul_f32_e32 v138, v54, v138                              // 00000000C7AC: 0B151536
	v_mul_f32_e32 v139, v54, v139                              // 00000000C7B0: 0B171736
	v_mul_f32_e32 v140, v54, v140                              // 00000000C7B4: 0B191936
	v_mul_f32_e32 v141, v54, v141                              // 00000000C7B8: 0B1B1B36
	v_mul_f32_e32 v142, v54, v142                              // 00000000C7BC: 0B1D1D36
	v_mul_f32_e32 v143, v54, v143                              // 00000000C7C0: 0B1F1F36
	buffer_load_dwordx4 a[48:51], v31, s[16:19], 0 offen       // 00000000C7C4: E05C1000 8084301F
	v_mul_f32_dpp v128, v248, v128 quad_perm:[0,0,0,0] row_mask:0xf bank_mask:0xf// 00000000C7CC: 0B0100FA FF0000F8
	v_mul_f32_dpp v129, v248, v129 quad_perm:[1,1,1,1] row_mask:0xf bank_mask:0xf// 00000000C7D4: 0B0302FA FF0055F8
	v_mul_f32_dpp v130, v248, v130 quad_perm:[2,2,2,2] row_mask:0xf bank_mask:0xf// 00000000C7DC: 0B0504FA FF00AAF8
	v_mul_f32_dpp v131, v248, v131 quad_perm:[3,3,3,3] row_mask:0xf bank_mask:0xf// 00000000C7E4: 0B0706FA FF00FFF8
	v_mul_f32_dpp v132, v249, v132 quad_perm:[0,0,0,0] row_mask:0xf bank_mask:0xf// 00000000C7EC: 0B0908FA FF0000F9
	v_mul_f32_dpp v133, v249, v133 quad_perm:[1,1,1,1] row_mask:0xf bank_mask:0xf// 00000000C7F4: 0B0B0AFA FF0055F9
	v_mul_f32_dpp v134, v249, v134 quad_perm:[2,2,2,2] row_mask:0xf bank_mask:0xf// 00000000C7FC: 0B0D0CFA FF00AAF9
	v_mul_f32_dpp v135, v249, v135 quad_perm:[3,3,3,3] row_mask:0xf bank_mask:0xf// 00000000C804: 0B0F0EFA FF00FFF9
	v_mul_f32_dpp v136, v250, v136 quad_perm:[0,0,0,0] row_mask:0xf bank_mask:0xf// 00000000C80C: 0B1110FA FF0000FA
	v_mul_f32_dpp v137, v250, v137 quad_perm:[1,1,1,1] row_mask:0xf bank_mask:0xf// 00000000C814: 0B1312FA FF0055FA
	v_mul_f32_dpp v138, v250, v138 quad_perm:[2,2,2,2] row_mask:0xf bank_mask:0xf// 00000000C81C: 0B1514FA FF00AAFA
	v_mul_f32_dpp v139, v250, v139 quad_perm:[3,3,3,3] row_mask:0xf bank_mask:0xf// 00000000C824: 0B1716FA FF00FFFA
	v_mul_f32_dpp v140, v251, v140 quad_perm:[0,0,0,0] row_mask:0xf bank_mask:0xf// 00000000C82C: 0B1918FA FF0000FB
	v_mul_f32_dpp v141, v251, v141 quad_perm:[1,1,1,1] row_mask:0xf bank_mask:0xf// 00000000C834: 0B1B1AFA FF0055FB
	v_mul_f32_dpp v142, v251, v142 quad_perm:[2,2,2,2] row_mask:0xf bank_mask:0xf// 00000000C83C: 0B1D1CFA FF00AAFB
	v_mul_f32_dpp v143, v251, v143 quad_perm:[3,3,3,3] row_mask:0xf bank_mask:0xf// 00000000C844: 0B1F1EFA FF00FFFB
	buffer_load_dwordx4 a[52:55], v31, s[16:19], 0 offen offset:1024// 00000000C84C: E05C1400 8084341F
	v_mov_b32_e32 v62, v128                                    // 00000000C854: 7E7C0380
	v_max3_f32 v62, v128, v129, v62                            // 00000000C858: D1D3003E 04FB0380
	v_max3_f32 v62, v130, v131, v62                            // 00000000C860: D1D3003E 04FB0782
	v_max3_f32 v62, v132, v133, v62                            // 00000000C868: D1D3003E 04FB0B84
	v_max3_f32 v62, v134, v135, v62                            // 00000000C870: D1D3003E 04FB0F86
	v_max3_f32 v62, v136, v137, v62                            // 00000000C878: D1D3003E 04FB1388
	v_max3_f32 v62, v138, v139, v62                            // 00000000C880: D1D3003E 04FB178A
	v_max3_f32 v62, v140, v141, v62                            // 00000000C888: D1D3003E 04FB1B8C
	v_max3_f32 v62, v142, v143, v62                            // 00000000C890: D1D3003E 04FB1F8E
	ds_write_b32 v11, v62 offset:16896                         // 00000000C898: D81A4200 00003E0B
	buffer_load_dwordx4 a[56:59], v32, s[16:19], 0 offen       // 00000000C8A0: E05C1000 80843820
	v_mul_u32_u24_dpp v41, v20, v68 row_newbcast:1 row_mask:0xf bank_mask:0xf// 00000000C8A8: 105288FA FF015114
	v_mul_u32_u24_dpp v42, v20, v68 row_newbcast:5 row_mask:0xf bank_mask:0xf// 00000000C8B0: 105488FA FF015514
	v_mul_u32_u24_dpp v43, v20, v68 row_newbcast:9 row_mask:0xf bank_mask:0xf// 00000000C8B8: 105688FA FF015914
	v_mul_u32_u24_dpp v44, v20, v68 row_newbcast:13 row_mask:0xf bank_mask:0xf// 00000000C8C0: 105888FA FF015D14
	v_add_u32_e32 v37, v41, v7                                 // 00000000C8C8: 684A0F29
	v_add_u32_e32 v38, v42, v7                                 // 00000000C8CC: 684C0F2A
	v_add_u32_e32 v39, v43, v7                                 // 00000000C8D0: 684E0F2B
	v_add_u32_e32 v40, v44, v7                                 // 00000000C8D4: 68500F2C
	v_mul_f32_e32 v224, v63, v224                              // 00000000C8D8: 0BC1C13F
	v_mul_f32_e32 v225, v63, v225                              // 00000000C8DC: 0BC3C33F
	v_mul_f32_e32 v226, v63, v226                              // 00000000C8E0: 0BC5C53F
	v_mul_f32_e32 v227, v63, v227                              // 00000000C8E4: 0BC7C73F
	v_mul_f32_e32 v228, v63, v228                              // 00000000C8E8: 0BC9C93F
	v_mul_f32_e32 v229, v63, v229                              // 00000000C8EC: 0BCBCB3F
	v_mul_f32_e32 v230, v63, v230                              // 00000000C8F0: 0BCDCD3F
	v_mul_f32_e32 v231, v63, v231                              // 00000000C8F4: 0BCFCF3F
	s_waitcnt lgkmcnt(0)                                       // 00000000C8F8: BF8CC07F
	s_barrier                                                  // 00000000C8FC: BF8A0000
	ds_read_b32 v80, v10 offset:16896                          // 00000000C900: D86C4200 5000000A
	ds_read_b32 v81, v10 offset:16960                          // 00000000C908: D86C4240 5100000A
	ds_read_b32 v82, v10 offset:17024                          // 00000000C910: D86C4280 5200000A
	ds_read_b32 v83, v10 offset:17088                          // 00000000C918: D86C42C0 5300000A
	ds_read_b32 v84, v10 offset:17152                          // 00000000C920: D86C4300 5400000A
	ds_read_b32 v85, v10 offset:17216                          // 00000000C928: D86C4340 5500000A
	ds_read_b32 v86, v10 offset:17280                          // 00000000C930: D86C4380 5600000A
	ds_read_b32 v87, v10 offset:17344                          // 00000000C938: D86C43C0 5700000A
	ds_read_b32 v88, v10 offset:17408                          // 00000000C940: D86C4400 5800000A
	ds_read_b32 v89, v10 offset:17472                          // 00000000C948: D86C4440 5900000A
	ds_read_b32 v90, v10 offset:17536                          // 00000000C950: D86C4480 5A00000A
	ds_read_b32 v91, v10 offset:17600                          // 00000000C958: D86C44C0 5B00000A
	ds_read_b32 v92, v10 offset:17664                          // 00000000C960: D86C4500 5C00000A
	ds_read_b32 v93, v10 offset:17728                          // 00000000C968: D86C4540 5D00000A
	ds_read_b32 v94, v10 offset:17792                          // 00000000C970: D86C4580 5E00000A
	ds_read_b32 v95, v10 offset:17856                          // 00000000C978: D86C45C0 5F00000A
	buffer_load_dwordx4 a[60:63], v32, s[16:19], 0 offen offset:1024// 00000000C980: E05C1400 80843C20
	v_mul_f32_e32 v192, v58, v192                              // 00000000C988: 0B81813A
	v_mul_f32_e32 v193, v58, v193                              // 00000000C98C: 0B83833A
	v_mul_f32_e32 v194, v58, v194                              // 00000000C990: 0B85853A
	v_mul_f32_e32 v195, v58, v195                              // 00000000C994: 0B87873A
	v_mul_f32_e32 v196, v58, v196                              // 00000000C998: 0B89893A
	v_mul_f32_e32 v197, v58, v197                              // 00000000C99C: 0B8B8B3A
	v_mul_f32_e32 v198, v58, v198                              // 00000000C9A0: 0B8D8D3A
	v_mul_f32_e32 v199, v58, v199                              // 00000000C9A4: 0B8F8F3A
	s_waitcnt lgkmcnt(0)                                       // 00000000C9A8: BF8CC07F
	v_max3_f32 v62, v80, v81, v62                              // 00000000C9AC: D1D3003E 04FAA350
	v_max3_f32 v62, v82, v83, v62                              // 00000000C9B4: D1D3003E 04FAA752
	v_max3_f32 v62, v84, v85, v62                              // 00000000C9BC: D1D3003E 04FAAB54
	v_max3_f32 v62, v86, v87, v62                              // 00000000C9C4: D1D3003E 04FAAF56
	v_max3_f32 v62, v88, v89, v62                              // 00000000C9CC: D1D3003E 04FAB358
	v_max3_f32 v62, v90, v91, v62                              // 00000000C9D4: D1D3003E 04FAB75A
	v_max3_f32 v62, v92, v93, v62                              // 00000000C9DC: D1D3003E 04FABB5C
	v_max3_f32 v62, v94, v95, v62                              // 00000000C9E4: D1D3003E 04FABF5E
	buffer_load_dwordx4 a[96:99], v37, s[20:23], 0 offen       // 00000000C9EC: E05C1000 80856025
	v_mov_b32_e32 v41, 0xff800000                              // 00000000C9F4: 7E5202FF FF800000
	v_cmp_eq_u32_e64 s[40:41], v41, v14                        // 00000000C9FC: D0CA0028 00021D29
	s_nop 1                                                    // 00000000CA04: BF800001
	v_max_f32_e32 v18, v62, v14                                // 00000000CA08: 16241D3E
	v_mul_f32_e32 v67, s64, v18                                // 00000000CA0C: 0A862440
	v_fma_f32 v128, v128, s64, -v67                            // 00000000CA10: D1CB0080 850C8180
	v_fma_f32 v129, v129, s64, -v67                            // 00000000CA18: D1CB0081 850C8181
	v_fma_f32 v130, v130, s64, -v67                            // 00000000CA20: D1CB0082 850C8182
	v_fma_f32 v131, v131, s64, -v67                            // 00000000CA28: D1CB0083 850C8183
	v_fma_f32 v132, v132, s64, -v67                            // 00000000CA30: D1CB0084 850C8184
	v_fma_f32 v133, v133, s64, -v67                            // 00000000CA38: D1CB0085 850C8185
	v_fma_f32 v134, v134, s64, -v67                            // 00000000CA40: D1CB0086 850C8186
	v_fma_f32 v135, v135, s64, -v67                            // 00000000CA48: D1CB0087 850C8187
	v_fma_f32 v136, v136, s64, -v67                            // 00000000CA50: D1CB0088 850C8188
	v_fma_f32 v137, v137, s64, -v67                            // 00000000CA58: D1CB0089 850C8189
	v_fma_f32 v138, v138, s64, -v67                            // 00000000CA60: D1CB008A 850C818A
	v_fma_f32 v139, v139, s64, -v67                            // 00000000CA68: D1CB008B 850C818B
	v_fma_f32 v140, v140, s64, -v67                            // 00000000CA70: D1CB008C 850C818C
	v_fma_f32 v141, v141, s64, -v67                            // 00000000CA78: D1CB008D 850C818D
	v_fma_f32 v142, v142, s64, -v67                            // 00000000CA80: D1CB008E 850C818E
	v_fma_f32 v143, v143, s64, -v67                            // 00000000CA88: D1CB008F 850C818F
	buffer_load_dwordx4 a[100:103], v38, s[20:23], 0 offen     // 00000000CA90: E05C1000 80856426
	v_exp_f32_e32 v128, v128                                   // 00000000CA98: 7F004180
	v_exp_f32_e32 v129, v129                                   // 00000000CA9C: 7F024181
	v_exp_f32_e32 v130, v130                                   // 00000000CAA0: 7F044182
	v_exp_f32_e32 v131, v131                                   // 00000000CAA4: 7F064183
	v_exp_f32_e32 v132, v132                                   // 00000000CAA8: 7F084184
	v_exp_f32_e32 v133, v133                                   // 00000000CAAC: 7F0A4185
	v_exp_f32_e32 v134, v134                                   // 00000000CAB0: 7F0C4186
	v_exp_f32_e32 v135, v135                                   // 00000000CAB4: 7F0E4187
	v_exp_f32_e32 v136, v136                                   // 00000000CAB8: 7F104188
	v_exp_f32_e32 v137, v137                                   // 00000000CABC: 7F124189
	v_exp_f32_e32 v138, v138                                   // 00000000CAC0: 7F14418A
	v_exp_f32_e32 v139, v139                                   // 00000000CAC4: 7F16418B
	v_exp_f32_e32 v140, v140                                   // 00000000CAC8: 7F18418C
	v_exp_f32_e32 v141, v141                                   // 00000000CACC: 7F1A418D
	v_exp_f32_e32 v142, v142                                   // 00000000CAD0: 7F1C418E
	v_exp_f32_e32 v143, v143                                   // 00000000CAD4: 7F1E418F
	buffer_load_dwordx4 a[104:107], v39, s[20:23], 0 offen     // 00000000CAD8: E05C1000 80856827
	v_mul_f32_dpp v240, v252, v128 quad_perm:[0,0,0,0] row_mask:0xf bank_mask:0xf// 00000000CAE0: 0BE100FA FF0000FC
	v_mul_f32_dpp v241, v252, v129 quad_perm:[1,1,1,1] row_mask:0xf bank_mask:0xf// 00000000CAE8: 0BE302FA FF0055FC
	v_mul_f32_dpp v242, v252, v130 quad_perm:[2,2,2,2] row_mask:0xf bank_mask:0xf// 00000000CAF0: 0BE504FA FF00AAFC
	v_mul_f32_dpp v243, v252, v131 quad_perm:[3,3,3,3] row_mask:0xf bank_mask:0xf// 00000000CAF8: 0BE706FA FF00FFFC
	v_mul_f32_dpp v244, v253, v132 quad_perm:[0,0,0,0] row_mask:0xf bank_mask:0xf// 00000000CB00: 0BE908FA FF0000FD
	v_mul_f32_dpp v245, v253, v133 quad_perm:[1,1,1,1] row_mask:0xf bank_mask:0xf// 00000000CB08: 0BEB0AFA FF0055FD
	v_mul_f32_dpp v246, v253, v134 quad_perm:[2,2,2,2] row_mask:0xf bank_mask:0xf// 00000000CB10: 0BED0CFA FF00AAFD
	v_mul_f32_dpp v247, v253, v135 quad_perm:[3,3,3,3] row_mask:0xf bank_mask:0xf// 00000000CB18: 0BEF0EFA FF00FFFD
	v_mul_f32_dpp v248, v254, v136 quad_perm:[0,0,0,0] row_mask:0xf bank_mask:0xf// 00000000CB20: 0BF110FA FF0000FE
	v_mul_f32_dpp v249, v254, v137 quad_perm:[1,1,1,1] row_mask:0xf bank_mask:0xf// 00000000CB28: 0BF312FA FF0055FE
	v_mul_f32_dpp v250, v254, v138 quad_perm:[2,2,2,2] row_mask:0xf bank_mask:0xf// 00000000CB30: 0BF514FA FF00AAFE
	v_mul_f32_dpp v251, v254, v139 quad_perm:[3,3,3,3] row_mask:0xf bank_mask:0xf// 00000000CB38: 0BF716FA FF00FFFE
	v_mul_f32_dpp v252, v255, v140 quad_perm:[0,0,0,0] row_mask:0xf bank_mask:0xf// 00000000CB40: 0BF918FA FF0000FF
	v_mul_f32_dpp v253, v255, v141 quad_perm:[1,1,1,1] row_mask:0xf bank_mask:0xf// 00000000CB48: 0BFB1AFA FF0055FF
	v_mul_f32_dpp v254, v255, v142 quad_perm:[2,2,2,2] row_mask:0xf bank_mask:0xf// 00000000CB50: 0BFD1CFA FF00AAFF
	v_mul_f32_dpp v255, v255, v143 quad_perm:[3,3,3,3] row_mask:0xf bank_mask:0xf// 00000000CB58: 0BFF1EFA FF00FFFF
	v_mov_b32_e32 v62, 0x358637bd                              // 00000000CB60: 7E7C02FF 358637BD
	v_max3_f32 v62, |v240|, |v241|, v62                        // 00000000CB68: D1D3033E 04FBE3F0
	v_max3_f32 v62, |v242|, |v243|, v62                        // 00000000CB70: D1D3033E 04FBE7F2
	v_max3_f32 v62, |v244|, |v245|, v62                        // 00000000CB78: D1D3033E 04FBEBF4
	v_max3_f32 v62, |v246|, |v247|, v62                        // 00000000CB80: D1D3033E 04FBEFF6
	v_max3_f32 v62, |v248|, |v249|, v62                        // 00000000CB88: D1D3033E 04FBF3F8
	v_max3_f32 v62, |v250|, |v251|, v62                        // 00000000CB90: D1D3033E 04FBF7FA
	v_max3_f32 v62, |v252|, |v253|, v62                        // 00000000CB98: D1D3033E 04FBFBFC
	v_max3_f32 v62, |v254|, |v255|, v62                        // 00000000CBA0: D1D3033E 04FBFFFE
	buffer_load_dwordx4 a[108:111], v40, s[20:23], 0 offen     // 00000000CBA8: E05C1000 80856C28
	ds_write_b32 v11, v62 offset:20992                         // 00000000CBB0: D81A5200 00003E0B
	v_sub_f32_e32 v63, v14, v18                                // 00000000CBB8: 047E250E
	v_cndmask_b32_e64 v63, v63, 0, s[40:41]                    // 00000000CBBC: D100003F 00A1013F
	v_mov_b32_e32 v14, v18                                     // 00000000CBC4: 7E1C0312
	v_mul_f32_e32 v63, s64, v63                                // 00000000CBC8: 0A7E7E40
	v_exp_f32_e32 v63, v63                                     // 00000000CBCC: 7E7E413F
	s_waitcnt lgkmcnt(0)                                       // 00000000CBD0: BF8CC07F
	s_barrier                                                  // 00000000CBD4: BF8A0000
	ds_read_b32 v80, v10 offset:20992                          // 00000000CBD8: D86C5200 5000000A
	ds_read_b32 v81, v10 offset:21056                          // 00000000CBE0: D86C5240 5100000A
	ds_read_b32 v82, v10 offset:21120                          // 00000000CBE8: D86C5280 5200000A
	ds_read_b32 v83, v10 offset:21184                          // 00000000CBF0: D86C52C0 5300000A
	ds_read_b32 v84, v10 offset:21248                          // 00000000CBF8: D86C5300 5400000A
	ds_read_b32 v85, v10 offset:21312                          // 00000000CC00: D86C5340 5500000A
	ds_read_b32 v86, v10 offset:21376                          // 00000000CC08: D86C5380 5600000A
	ds_read_b32 v87, v10 offset:21440                          // 00000000CC10: D86C53C0 5700000A
	ds_read_b32 v88, v10 offset:21504                          // 00000000CC18: D86C5400 5800000A
	ds_read_b32 v89, v10 offset:21568                          // 00000000CC20: D86C5440 5900000A
	ds_read_b32 v90, v10 offset:21632                          // 00000000CC28: D86C5480 5A00000A
	ds_read_b32 v91, v10 offset:21696                          // 00000000CC30: D86C54C0 5B00000A
	ds_read_b32 v92, v10 offset:21760                          // 00000000CC38: D86C5500 5C00000A
	ds_read_b32 v93, v10 offset:21824                          // 00000000CC40: D86C5540 5D00000A
	ds_read_b32 v94, v10 offset:21888                          // 00000000CC48: D86C5580 5E00000A
	ds_read_b32 v95, v10 offset:21952                          // 00000000CC50: D86C55C0 5F00000A
	v_mul_f32_e32 v47, v63, v47                                // 00000000CC58: 0A5E5F3F
	v_mov_b32_e32 v18, v128                                    // 00000000CC5C: 7E240380
	v_add_f32_e32 v18, v129, v18                               // 00000000CC60: 02242581
	v_add_f32_e32 v18, v130, v18                               // 00000000CC64: 02242582
	v_add_f32_e32 v18, v131, v18                               // 00000000CC68: 02242583
	v_add_f32_e32 v18, v132, v18                               // 00000000CC6C: 02242584
	v_add_f32_e32 v18, v133, v18                               // 00000000CC70: 02242585
	v_add_f32_e32 v18, v134, v18                               // 00000000CC74: 02242586
	v_add_f32_e32 v18, v135, v18                               // 00000000CC78: 02242587
	v_add_f32_e32 v18, v136, v18                               // 00000000CC7C: 02242588
	v_add_f32_e32 v18, v137, v18                               // 00000000CC80: 02242589
	v_add_f32_e32 v18, v138, v18                               // 00000000CC84: 0224258A
	v_add_f32_e32 v18, v139, v18                               // 00000000CC88: 0224258B
	v_add_f32_e32 v18, v140, v18                               // 00000000CC8C: 0224258C
	v_add_f32_e32 v18, v141, v18                               // 00000000CC90: 0224258D
	v_add_f32_e32 v18, v142, v18                               // 00000000CC94: 0224258E
	v_add_f32_e32 v18, v143, v18                               // 00000000CC98: 0224258F
	v_add_f32_e32 v47, v18, v47                                // 00000000CC9C: 025E5F12
	s_waitcnt lgkmcnt(0)                                       // 00000000CCA0: BF8CC07F
	v_max3_f32 v62, |v80|, |v81|, v62                          // 00000000CCA4: D1D3033E 04FAA350
	v_max3_f32 v62, |v82|, |v83|, v62                          // 00000000CCAC: D1D3033E 04FAA752
	v_max3_f32 v62, |v84|, |v85|, v62                          // 00000000CCB4: D1D3033E 04FAAB54
	v_max3_f32 v62, |v86|, |v87|, v62                          // 00000000CCBC: D1D3033E 04FAAF56
	v_max3_f32 v62, |v88|, |v89|, v62                          // 00000000CCC4: D1D3033E 04FAB358
	v_max3_f32 v62, |v90|, |v91|, v62                          // 00000000CCCC: D1D3033E 04FAB75A
	v_max3_f32 v62, |v92|, |v93|, v62                          // 00000000CCD4: D1D3033E 04FABB5C
	v_max3_f32 v62, |v94|, |v95|, v62                          // 00000000CCDC: D1D3033E 04FABF5E
	s_nop 2                                                    // 00000000CCE4: BF800002
	v_rcp_f32_e32 v62, v62                                     // 00000000CCE8: 7E7C453E
	s_nop 1                                                    // 00000000CCEC: BF800001
	v_mul_f32_e32 v62, 0x43700000, v62                         // 00000000CCF0: 0A7C7CFF 43700000
	v_mul_f32_e32 v128, v62, v240                              // 00000000CCF8: 0B01E13E
	v_mul_f32_e32 v129, v62, v241                              // 00000000CCFC: 0B03E33E
	v_mul_f32_e32 v130, v62, v242                              // 00000000CD00: 0B05E53E
	v_mul_f32_e32 v131, v62, v243                              // 00000000CD04: 0B07E73E
	v_mul_f32_e32 v132, v62, v244                              // 00000000CD08: 0B09E93E
	v_mul_f32_e32 v133, v62, v245                              // 00000000CD0C: 0B0BEB3E
	v_mul_f32_e32 v134, v62, v246                              // 00000000CD10: 0B0DED3E
	v_mul_f32_e32 v135, v62, v247                              // 00000000CD14: 0B0FEF3E
	v_mul_f32_e32 v136, v62, v248                              // 00000000CD18: 0B11F13E
	v_mul_f32_e32 v137, v62, v249                              // 00000000CD1C: 0B13F33E
	v_mul_f32_e32 v138, v62, v250                              // 00000000CD20: 0B15F53E
	v_mul_f32_e32 v139, v62, v251                              // 00000000CD24: 0B17F73E
	v_mul_f32_e32 v140, v62, v252                              // 00000000CD28: 0B19F93E
	v_mul_f32_e32 v141, v62, v253                              // 00000000CD2C: 0B1BFB3E
	v_mul_f32_e32 v142, v62, v254                              // 00000000CD30: 0B1DFD3E
	v_mul_f32_e32 v143, v62, v255                              // 00000000CD34: 0B1FFF3E
	v_cvt_pk_fp8_f32 v128, v128, v129                          // 00000000CD38: D2A20080 00030380
	v_cvt_pk_fp8_f32 v128, v130, v131 op_sel:[0,0,1]           // 00000000CD40: D2A24080 00030782
	v_cvt_pk_fp8_f32 v129, v132, v133                          // 00000000CD48: D2A20081 00030B84
	v_cvt_pk_fp8_f32 v129, v134, v135 op_sel:[0,0,1]           // 00000000CD50: D2A24081 00030F86
	v_cvt_pk_fp8_f32 v130, v136, v137                          // 00000000CD58: D2A20082 00031388
	v_cvt_pk_fp8_f32 v130, v138, v139 op_sel:[0,0,1]           // 00000000CD60: D2A24082 0003178A
	v_cvt_pk_fp8_f32 v131, v140, v141                          // 00000000CD68: D2A20083 00031B8C
	v_cvt_pk_fp8_f32 v131, v142, v143 op_sel:[0,0,1]           // 00000000CD70: D2A24083 00031F8E
	ds_write_b32 v13, v128 offset:25088                        // 00000000CD78: D81A6200 0000800D
	ds_write_b32 v13, v129 offset:26112                        // 00000000CD80: D81A6600 0000810D
	ds_write_b32 v13, v130 offset:27136                        // 00000000CD88: D81A6A00 0000820D
	ds_write_b32 v13, v131 offset:28160                        // 00000000CD90: D81A6E00 0000830D
	v_add_f32_e32 v224, v224, v192                             // 00000000CD98: 03C181E0
	v_add_f32_e32 v225, v225, v193                             // 00000000CD9C: 03C383E1
	v_add_f32_e32 v226, v226, v194                             // 00000000CDA0: 03C585E2
	v_add_f32_e32 v227, v227, v195                             // 00000000CDA4: 03C787E3
	v_add_f32_e32 v228, v228, v196                             // 00000000CDA8: 03C989E4
	v_add_f32_e32 v229, v229, v197                             // 00000000CDAC: 03CB8BE5
	v_add_f32_e32 v230, v230, v198                             // 00000000CDB0: 03CD8DE6
	v_add_f32_e32 v231, v231, v199                             // 00000000CDB4: 03CF8FE7
	v_rcp_f32_e32 v58, v62                                     // 00000000CDB8: 7E74453E
	s_waitcnt lgkmcnt(0)                                       // 00000000CDBC: BF8CC07F
	s_barrier                                                  // 00000000CDC0: BF8A0000
	ds_read_b64 v[128:129], v12 offset:25088                   // 00000000CDC4: D8EC6200 8000000C
	ds_read_b64 v[130:131], v12 offset:25216                   // 00000000CDCC: D8EC6280 8200000C
	ds_read_b64 v[132:133], v12 offset:26112                   // 00000000CDD4: D8EC6600 8400000C
	ds_read_b64 v[134:135], v12 offset:26240                   // 00000000CDDC: D8EC6680 8600000C
	ds_read_b64 v[136:137], v12 offset:27136                   // 00000000CDE4: D8EC6A00 8800000C
	ds_read_b64 v[138:139], v12 offset:27264                   // 00000000CDEC: D8EC6A80 8A00000C
	ds_read_b64 v[140:141], v12 offset:28160                   // 00000000CDF4: D8EC6E00 8C00000C
	ds_read_b64 v[142:143], v12 offset:28288                   // 00000000CDFC: D8EC6E80 8E00000C
	v_mov_b32_dpp v41, v52 row_shr:4 row_mask:0xf bank_mask:0xf// 00000000CE04: 7E5202FA FF011434
	v_mov_b32_dpp v42, v52 row_shl:4 row_mask:0xf bank_mask:0xf// 00000000CE0C: 7E5402FA FF010434
	v_cndmask_b32_e64 v248, v52, v41, s[44:45]                 // 00000000CE14: D10000F8 00B25334
	v_cndmask_b32_e64 v249, v42, v52, s[44:45]                 // 00000000CE1C: D10000F9 00B2692A
	v_mov_b32_dpp v41, v248 row_shr:8 row_mask:0xf bank_mask:0xf// 00000000CE24: 7E5202FA FF0118F8
	v_mov_b32_dpp v42, v248 row_shl:8 row_mask:0xf bank_mask:0xf// 00000000CE2C: 7E5402FA FF0108F8
	v_mov_b32_dpp v43, v249 row_shr:8 row_mask:0xf bank_mask:0xf// 00000000CE34: 7E5602FA FF0118F9
	v_mov_b32_dpp v44, v249 row_shl:8 row_mask:0xf bank_mask:0xf// 00000000CE3C: 7E5802FA FF0108F9
	v_mov_b32_e32 v45, v248                                    // 00000000CE44: 7E5A03F8
	v_mov_b32_e32 v46, v249                                    // 00000000CE48: 7E5C03F9
	v_cndmask_b32_e64 v248, v45, v41, s[42:43]                 // 00000000CE4C: D10000F8 00AA532D
	v_cndmask_b32_e64 v250, v45, v42, s[78:79]                 // 00000000CE54: D10000FA 013A552D
	v_cndmask_b32_e64 v249, v46, v43, s[42:43]                 // 00000000CE5C: D10000F9 00AA572E
	v_cndmask_b32_e64 v251, v46, v44, s[78:79]                 // 00000000CE64: D10000FB 013A592E
	v_mov_b32_dpp v41, v72 row_shr:4 row_mask:0xf bank_mask:0xf// 00000000CE6C: 7E5202FA FF011448
	v_mov_b32_dpp v42, v72 row_shl:4 row_mask:0xf bank_mask:0xf// 00000000CE74: 7E5402FA FF010448
	v_cndmask_b32_e64 v252, v72, v41, s[44:45]                 // 00000000CE7C: D10000FC 00B25348
	v_cndmask_b32_e64 v253, v42, v72, s[44:45]                 // 00000000CE84: D10000FD 00B2912A
	v_mov_b32_dpp v41, v252 row_shr:8 row_mask:0xf bank_mask:0xf// 00000000CE8C: 7E5202FA FF0118FC
	v_mov_b32_dpp v42, v252 row_shl:8 row_mask:0xf bank_mask:0xf// 00000000CE94: 7E5402FA FF0108FC
	v_mov_b32_dpp v43, v253 row_shr:8 row_mask:0xf bank_mask:0xf// 00000000CE9C: 7E5602FA FF0118FD
	v_mov_b32_dpp v44, v253 row_shl:8 row_mask:0xf bank_mask:0xf// 00000000CEA4: 7E5802FA FF0108FD
	v_mov_b32_e32 v45, v252                                    // 00000000CEAC: 7E5A03FC
	v_mov_b32_e32 v46, v253                                    // 00000000CEB0: 7E5C03FD
	v_cndmask_b32_e64 v252, v45, v41, s[42:43]                 // 00000000CEB4: D10000FC 00AA532D
	v_cndmask_b32_e64 v254, v45, v42, s[78:79]                 // 00000000CEBC: D10000FE 013A552D
	v_cndmask_b32_e64 v253, v46, v43, s[42:43]                 // 00000000CEC4: D10000FD 00AA572E
	v_cndmask_b32_e64 v255, v46, v44, s[78:79]                 // 00000000CECC: D10000FF 013A592E
	v_mul_f32_e32 v144, v55, v144                              // 00000000CED4: 0B212137
	v_mul_f32_e32 v145, v55, v145                              // 00000000CED8: 0B232337
	v_mul_f32_e32 v146, v55, v146                              // 00000000CEDC: 0B252537
	v_mul_f32_e32 v147, v55, v147                              // 00000000CEE0: 0B272737
	v_mul_f32_e32 v148, v55, v148                              // 00000000CEE4: 0B292937
	v_mul_f32_e32 v149, v55, v149                              // 00000000CEE8: 0B2B2B37
	v_mul_f32_e32 v150, v55, v150                              // 00000000CEEC: 0B2D2D37
	v_mul_f32_e32 v151, v55, v151                              // 00000000CEF0: 0B2F2F37
	v_mul_f32_e32 v152, v55, v152                              // 00000000CEF4: 0B313137
	v_mul_f32_e32 v153, v55, v153                              // 00000000CEF8: 0B333337
	v_mul_f32_e32 v154, v55, v154                              // 00000000CEFC: 0B353537
	v_mul_f32_e32 v155, v55, v155                              // 00000000CF00: 0B373737
	v_mul_f32_e32 v156, v55, v156                              // 00000000CF04: 0B393937
	v_mul_f32_e32 v157, v55, v157                              // 00000000CF08: 0B3B3B37
	v_mul_f32_e32 v158, v55, v158                              // 00000000CF0C: 0B3D3D37
	v_mul_f32_e32 v159, v55, v159                              // 00000000CF10: 0B3F3F37
	v_mul_f32_dpp v144, v248, v144 quad_perm:[0,0,0,0] row_mask:0xf bank_mask:0xf// 00000000CF14: 0B2120FA FF0000F8
	v_mul_f32_dpp v145, v248, v145 quad_perm:[1,1,1,1] row_mask:0xf bank_mask:0xf// 00000000CF1C: 0B2322FA FF0055F8
	v_mul_f32_dpp v146, v248, v146 quad_perm:[2,2,2,2] row_mask:0xf bank_mask:0xf// 00000000CF24: 0B2524FA FF00AAF8
	v_mul_f32_dpp v147, v248, v147 quad_perm:[3,3,3,3] row_mask:0xf bank_mask:0xf// 00000000CF2C: 0B2726FA FF00FFF8
	v_mul_f32_dpp v148, v249, v148 quad_perm:[0,0,0,0] row_mask:0xf bank_mask:0xf// 00000000CF34: 0B2928FA FF0000F9
	v_mul_f32_dpp v149, v249, v149 quad_perm:[1,1,1,1] row_mask:0xf bank_mask:0xf// 00000000CF3C: 0B2B2AFA FF0055F9
	v_mul_f32_dpp v150, v249, v150 quad_perm:[2,2,2,2] row_mask:0xf bank_mask:0xf// 00000000CF44: 0B2D2CFA FF00AAF9
	v_mul_f32_dpp v151, v249, v151 quad_perm:[3,3,3,3] row_mask:0xf bank_mask:0xf// 00000000CF4C: 0B2F2EFA FF00FFF9
	v_mul_f32_dpp v152, v250, v152 quad_perm:[0,0,0,0] row_mask:0xf bank_mask:0xf// 00000000CF54: 0B3130FA FF0000FA
	v_mul_f32_dpp v153, v250, v153 quad_perm:[1,1,1,1] row_mask:0xf bank_mask:0xf// 00000000CF5C: 0B3332FA FF0055FA
	v_mul_f32_dpp v154, v250, v154 quad_perm:[2,2,2,2] row_mask:0xf bank_mask:0xf// 00000000CF64: 0B3534FA FF00AAFA
	v_mul_f32_dpp v155, v250, v155 quad_perm:[3,3,3,3] row_mask:0xf bank_mask:0xf// 00000000CF6C: 0B3736FA FF00FFFA
	v_mul_f32_dpp v156, v251, v156 quad_perm:[0,0,0,0] row_mask:0xf bank_mask:0xf// 00000000CF74: 0B3938FA FF0000FB
	v_mul_f32_dpp v157, v251, v157 quad_perm:[1,1,1,1] row_mask:0xf bank_mask:0xf// 00000000CF7C: 0B3B3AFA FF0055FB
	v_mul_f32_dpp v158, v251, v158 quad_perm:[2,2,2,2] row_mask:0xf bank_mask:0xf// 00000000CF84: 0B3D3CFA FF00AAFB
	v_mul_f32_dpp v159, v251, v159 quad_perm:[3,3,3,3] row_mask:0xf bank_mask:0xf// 00000000CF8C: 0B3F3EFA FF00FFFB
	v_mov_b32_e32 v62, v144                                    // 00000000CF94: 7E7C0390
	v_max3_f32 v62, v144, v145, v62                            // 00000000CF98: D1D3003E 04FB2390
	v_max3_f32 v62, v146, v147, v62                            // 00000000CFA0: D1D3003E 04FB2792
	v_max3_f32 v62, v148, v149, v62                            // 00000000CFA8: D1D3003E 04FB2B94
	v_max3_f32 v62, v150, v151, v62                            // 00000000CFB0: D1D3003E 04FB2F96
	v_max3_f32 v62, v152, v153, v62                            // 00000000CFB8: D1D3003E 04FB3398
	v_max3_f32 v62, v154, v155, v62                            // 00000000CFC0: D1D3003E 04FB379A
	v_max3_f32 v62, v156, v157, v62                            // 00000000CFC8: D1D3003E 04FB3B9C
	v_max3_f32 v62, v158, v159, v62                            // 00000000CFD0: D1D3003E 04FB3F9E
	ds_write_b32 v11, v62 offset:16896                         // 00000000CFD8: D81A4200 00003E0B
	v_mul_f32_e32 v232, v64, v232                              // 00000000CFE0: 0BD1D140
	v_mul_f32_e32 v233, v64, v233                              // 00000000CFE4: 0BD3D340
	v_mul_f32_e32 v234, v64, v234                              // 00000000CFE8: 0BD5D540
	v_mul_f32_e32 v235, v64, v235                              // 00000000CFEC: 0BD7D740
	v_mul_f32_e32 v236, v64, v236                              // 00000000CFF0: 0BD9D940
	v_mul_f32_e32 v237, v64, v237                              // 00000000CFF4: 0BDBDB40
	v_mul_f32_e32 v238, v64, v238                              // 00000000CFF8: 0BDDDD40
	v_mul_f32_e32 v239, v64, v239                              // 00000000CFFC: 0BDFDF40
	s_waitcnt lgkmcnt(0)                                       // 00000000D000: BF8CC07F
	s_barrier                                                  // 00000000D004: BF8A0000
	ds_read_b32 v80, v10 offset:16896                          // 00000000D008: D86C4200 5000000A
	ds_read_b32 v81, v10 offset:16960                          // 00000000D010: D86C4240 5100000A
	ds_read_b32 v82, v10 offset:17024                          // 00000000D018: D86C4280 5200000A
	ds_read_b32 v83, v10 offset:17088                          // 00000000D020: D86C42C0 5300000A
	ds_read_b32 v84, v10 offset:17152                          // 00000000D028: D86C4300 5400000A
	ds_read_b32 v85, v10 offset:17216                          // 00000000D030: D86C4340 5500000A
	ds_read_b32 v86, v10 offset:17280                          // 00000000D038: D86C4380 5600000A
	ds_read_b32 v87, v10 offset:17344                          // 00000000D040: D86C43C0 5700000A
	ds_read_b32 v88, v10 offset:17408                          // 00000000D048: D86C4400 5800000A
	ds_read_b32 v89, v10 offset:17472                          // 00000000D050: D86C4440 5900000A
	ds_read_b32 v90, v10 offset:17536                          // 00000000D058: D86C4480 5A00000A
	ds_read_b32 v91, v10 offset:17600                          // 00000000D060: D86C44C0 5B00000A
	ds_read_b32 v92, v10 offset:17664                          // 00000000D068: D86C4500 5C00000A
	ds_read_b32 v93, v10 offset:17728                          // 00000000D070: D86C4540 5D00000A
	ds_read_b32 v94, v10 offset:17792                          // 00000000D078: D86C4580 5E00000A
	ds_read_b32 v95, v10 offset:17856                          // 00000000D080: D86C45C0 5F00000A
	v_mul_f32_e32 v200, v59, v200                              // 00000000D088: 0B91913B
	v_mul_f32_e32 v201, v59, v201                              // 00000000D08C: 0B93933B
	v_mul_f32_e32 v202, v59, v202                              // 00000000D090: 0B95953B
	v_mul_f32_e32 v203, v59, v203                              // 00000000D094: 0B97973B
	v_mul_f32_e32 v204, v59, v204                              // 00000000D098: 0B99993B
	v_mul_f32_e32 v205, v59, v205                              // 00000000D09C: 0B9B9B3B
	v_mul_f32_e32 v206, v59, v206                              // 00000000D0A0: 0B9D9D3B
	v_mul_f32_e32 v207, v59, v207                              // 00000000D0A4: 0B9F9F3B
	s_waitcnt lgkmcnt(0)                                       // 00000000D0A8: BF8CC07F
	v_max3_f32 v62, v80, v81, v62                              // 00000000D0AC: D1D3003E 04FAA350
	v_max3_f32 v62, v82, v83, v62                              // 00000000D0B4: D1D3003E 04FAA752
	v_max3_f32 v62, v84, v85, v62                              // 00000000D0BC: D1D3003E 04FAAB54
	v_max3_f32 v62, v86, v87, v62                              // 00000000D0C4: D1D3003E 04FAAF56
	v_max3_f32 v62, v88, v89, v62                              // 00000000D0CC: D1D3003E 04FAB358
	v_max3_f32 v62, v90, v91, v62                              // 00000000D0D4: D1D3003E 04FAB75A
	v_max3_f32 v62, v92, v93, v62                              // 00000000D0DC: D1D3003E 04FABB5C
	v_max3_f32 v62, v94, v95, v62                              // 00000000D0E4: D1D3003E 04FABF5E
	v_mov_b32_e32 v41, 0xff800000                              // 00000000D0EC: 7E5202FF FF800000
	v_cmp_eq_u32_e64 s[40:41], v41, v15                        // 00000000D0F4: D0CA0028 00021F29
	s_nop 1                                                    // 00000000D0FC: BF800001
	v_max_f32_e32 v18, v62, v15                                // 00000000D100: 16241F3E
	v_mul_f32_e32 v67, s64, v18                                // 00000000D104: 0A862440
	v_fma_f32 v144, v144, s64, -v67                            // 00000000D108: D1CB0090 850C8190
	v_fma_f32 v145, v145, s64, -v67                            // 00000000D110: D1CB0091 850C8191
	v_fma_f32 v146, v146, s64, -v67                            // 00000000D118: D1CB0092 850C8192
	v_fma_f32 v147, v147, s64, -v67                            // 00000000D120: D1CB0093 850C8193
	v_fma_f32 v148, v148, s64, -v67                            // 00000000D128: D1CB0094 850C8194
	v_fma_f32 v149, v149, s64, -v67                            // 00000000D130: D1CB0095 850C8195
	v_fma_f32 v150, v150, s64, -v67                            // 00000000D138: D1CB0096 850C8196
	v_fma_f32 v151, v151, s64, -v67                            // 00000000D140: D1CB0097 850C8197
	v_fma_f32 v152, v152, s64, -v67                            // 00000000D148: D1CB0098 850C8198
	v_fma_f32 v153, v153, s64, -v67                            // 00000000D150: D1CB0099 850C8199
	v_fma_f32 v154, v154, s64, -v67                            // 00000000D158: D1CB009A 850C819A
	v_fma_f32 v155, v155, s64, -v67                            // 00000000D160: D1CB009B 850C819B
	v_fma_f32 v156, v156, s64, -v67                            // 00000000D168: D1CB009C 850C819C
	v_fma_f32 v157, v157, s64, -v67                            // 00000000D170: D1CB009D 850C819D
	v_fma_f32 v158, v158, s64, -v67                            // 00000000D178: D1CB009E 850C819E
	v_fma_f32 v159, v159, s64, -v67                            // 00000000D180: D1CB009F 850C819F
	v_exp_f32_e32 v144, v144                                   // 00000000D188: 7F204190
	v_exp_f32_e32 v145, v145                                   // 00000000D18C: 7F224191
	v_exp_f32_e32 v146, v146                                   // 00000000D190: 7F244192
	v_exp_f32_e32 v147, v147                                   // 00000000D194: 7F264193
	v_exp_f32_e32 v148, v148                                   // 00000000D198: 7F284194
	v_exp_f32_e32 v149, v149                                   // 00000000D19C: 7F2A4195
	v_exp_f32_e32 v150, v150                                   // 00000000D1A0: 7F2C4196
	v_exp_f32_e32 v151, v151                                   // 00000000D1A4: 7F2E4197
	v_exp_f32_e32 v152, v152                                   // 00000000D1A8: 7F304198
	v_exp_f32_e32 v153, v153                                   // 00000000D1AC: 7F324199
	v_exp_f32_e32 v154, v154                                   // 00000000D1B0: 7F34419A
	v_exp_f32_e32 v155, v155                                   // 00000000D1B4: 7F36419B
	v_exp_f32_e32 v156, v156                                   // 00000000D1B8: 7F38419C
	v_exp_f32_e32 v157, v157                                   // 00000000D1BC: 7F3A419D
	v_exp_f32_e32 v158, v158                                   // 00000000D1C0: 7F3C419E
	v_exp_f32_e32 v159, v159                                   // 00000000D1C4: 7F3E419F
	v_mul_f32_dpp v240, v252, v144 quad_perm:[0,0,0,0] row_mask:0xf bank_mask:0xf// 00000000D1C8: 0BE120FA FF0000FC
	v_mul_f32_dpp v241, v252, v145 quad_perm:[1,1,1,1] row_mask:0xf bank_mask:0xf// 00000000D1D0: 0BE322FA FF0055FC
	v_mul_f32_dpp v242, v252, v146 quad_perm:[2,2,2,2] row_mask:0xf bank_mask:0xf// 00000000D1D8: 0BE524FA FF00AAFC
	v_mul_f32_dpp v243, v252, v147 quad_perm:[3,3,3,3] row_mask:0xf bank_mask:0xf// 00000000D1E0: 0BE726FA FF00FFFC
	v_mul_f32_dpp v244, v253, v148 quad_perm:[0,0,0,0] row_mask:0xf bank_mask:0xf// 00000000D1E8: 0BE928FA FF0000FD
	v_mul_f32_dpp v245, v253, v149 quad_perm:[1,1,1,1] row_mask:0xf bank_mask:0xf// 00000000D1F0: 0BEB2AFA FF0055FD
	v_mul_f32_dpp v246, v253, v150 quad_perm:[2,2,2,2] row_mask:0xf bank_mask:0xf// 00000000D1F8: 0BED2CFA FF00AAFD
	v_mul_f32_dpp v247, v253, v151 quad_perm:[3,3,3,3] row_mask:0xf bank_mask:0xf// 00000000D200: 0BEF2EFA FF00FFFD
	v_mul_f32_dpp v248, v254, v152 quad_perm:[0,0,0,0] row_mask:0xf bank_mask:0xf// 00000000D208: 0BF130FA FF0000FE
	v_mul_f32_dpp v249, v254, v153 quad_perm:[1,1,1,1] row_mask:0xf bank_mask:0xf// 00000000D210: 0BF332FA FF0055FE
	v_mul_f32_dpp v250, v254, v154 quad_perm:[2,2,2,2] row_mask:0xf bank_mask:0xf// 00000000D218: 0BF534FA FF00AAFE
	v_mul_f32_dpp v251, v254, v155 quad_perm:[3,3,3,3] row_mask:0xf bank_mask:0xf// 00000000D220: 0BF736FA FF00FFFE
	v_mul_f32_dpp v252, v255, v156 quad_perm:[0,0,0,0] row_mask:0xf bank_mask:0xf// 00000000D228: 0BF938FA FF0000FF
	v_mul_f32_dpp v253, v255, v157 quad_perm:[1,1,1,1] row_mask:0xf bank_mask:0xf// 00000000D230: 0BFB3AFA FF0055FF
	v_mul_f32_dpp v254, v255, v158 quad_perm:[2,2,2,2] row_mask:0xf bank_mask:0xf// 00000000D238: 0BFD3CFA FF00AAFF
	v_mul_f32_dpp v255, v255, v159 quad_perm:[3,3,3,3] row_mask:0xf bank_mask:0xf// 00000000D240: 0BFF3EFA FF00FFFF
	v_mov_b32_e32 v62, 0x358637bd                              // 00000000D248: 7E7C02FF 358637BD
	v_max3_f32 v62, |v240|, |v241|, v62                        // 00000000D250: D1D3033E 04FBE3F0
	v_max3_f32 v62, |v242|, |v243|, v62                        // 00000000D258: D1D3033E 04FBE7F2
	v_max3_f32 v62, |v244|, |v245|, v62                        // 00000000D260: D1D3033E 04FBEBF4
	v_max3_f32 v62, |v246|, |v247|, v62                        // 00000000D268: D1D3033E 04FBEFF6
	v_max3_f32 v62, |v248|, |v249|, v62                        // 00000000D270: D1D3033E 04FBF3F8
	v_max3_f32 v62, |v250|, |v251|, v62                        // 00000000D278: D1D3033E 04FBF7FA
	v_max3_f32 v62, |v252|, |v253|, v62                        // 00000000D280: D1D3033E 04FBFBFC
	v_max3_f32 v62, |v254|, |v255|, v62                        // 00000000D288: D1D3033E 04FBFFFE
	ds_write_b32 v11, v62 offset:20992                         // 00000000D290: D81A5200 00003E0B
	v_sub_f32_e32 v64, v15, v18                                // 00000000D298: 0480250F
	v_cndmask_b32_e64 v64, v64, 0, s[40:41]                    // 00000000D29C: D1000040 00A10140
	v_mov_b32_e32 v15, v18                                     // 00000000D2A4: 7E1E0312
	v_mul_f32_e32 v64, s64, v64                                // 00000000D2A8: 0A808040
	v_exp_f32_e32 v64, v64                                     // 00000000D2AC: 7E804140
	s_waitcnt lgkmcnt(0)                                       // 00000000D2B0: BF8CC07F
	s_barrier                                                  // 00000000D2B4: BF8A0000
	ds_read_b32 v80, v10 offset:20992                          // 00000000D2B8: D86C5200 5000000A
	ds_read_b32 v81, v10 offset:21056                          // 00000000D2C0: D86C5240 5100000A
	ds_read_b32 v82, v10 offset:21120                          // 00000000D2C8: D86C5280 5200000A
	ds_read_b32 v83, v10 offset:21184                          // 00000000D2D0: D86C52C0 5300000A
	ds_read_b32 v84, v10 offset:21248                          // 00000000D2D8: D86C5300 5400000A
	ds_read_b32 v85, v10 offset:21312                          // 00000000D2E0: D86C5340 5500000A
	ds_read_b32 v86, v10 offset:21376                          // 00000000D2E8: D86C5380 5600000A
	ds_read_b32 v87, v10 offset:21440                          // 00000000D2F0: D86C53C0 5700000A
	ds_read_b32 v88, v10 offset:21504                          // 00000000D2F8: D86C5400 5800000A
	ds_read_b32 v89, v10 offset:21568                          // 00000000D300: D86C5440 5900000A
	ds_read_b32 v90, v10 offset:21632                          // 00000000D308: D86C5480 5A00000A
	ds_read_b32 v91, v10 offset:21696                          // 00000000D310: D86C54C0 5B00000A
	ds_read_b32 v92, v10 offset:21760                          // 00000000D318: D86C5500 5C00000A
	ds_read_b32 v93, v10 offset:21824                          // 00000000D320: D86C5540 5D00000A
	ds_read_b32 v94, v10 offset:21888                          // 00000000D328: D86C5580 5E00000A
	ds_read_b32 v95, v10 offset:21952                          // 00000000D330: D86C55C0 5F00000A
	v_mul_f32_e32 v48, v64, v48                                // 00000000D338: 0A606140
	v_mov_b32_e32 v18, v144                                    // 00000000D33C: 7E240390
	v_add_f32_e32 v18, v145, v18                               // 00000000D340: 02242591
	v_add_f32_e32 v18, v146, v18                               // 00000000D344: 02242592
	v_add_f32_e32 v18, v147, v18                               // 00000000D348: 02242593
	v_add_f32_e32 v18, v148, v18                               // 00000000D34C: 02242594
	v_add_f32_e32 v18, v149, v18                               // 00000000D350: 02242595
	v_add_f32_e32 v18, v150, v18                               // 00000000D354: 02242596
	v_add_f32_e32 v18, v151, v18                               // 00000000D358: 02242597
	v_add_f32_e32 v18, v152, v18                               // 00000000D35C: 02242598
	v_add_f32_e32 v18, v153, v18                               // 00000000D360: 02242599
	v_add_f32_e32 v18, v154, v18                               // 00000000D364: 0224259A
	v_add_f32_e32 v18, v155, v18                               // 00000000D368: 0224259B
	v_add_f32_e32 v18, v156, v18                               // 00000000D36C: 0224259C
	v_add_f32_e32 v18, v157, v18                               // 00000000D370: 0224259D
	v_add_f32_e32 v18, v158, v18                               // 00000000D374: 0224259E
	v_add_f32_e32 v18, v159, v18                               // 00000000D378: 0224259F
	v_add_f32_e32 v48, v18, v48                                // 00000000D37C: 02606112
	s_waitcnt lgkmcnt(0)                                       // 00000000D380: BF8CC07F
	v_max3_f32 v62, |v80|, |v81|, v62                          // 00000000D384: D1D3033E 04FAA350
	v_max3_f32 v62, |v82|, |v83|, v62                          // 00000000D38C: D1D3033E 04FAA752
	v_max3_f32 v62, |v84|, |v85|, v62                          // 00000000D394: D1D3033E 04FAAB54
	v_max3_f32 v62, |v86|, |v87|, v62                          // 00000000D39C: D1D3033E 04FAAF56
	v_max3_f32 v62, |v88|, |v89|, v62                          // 00000000D3A4: D1D3033E 04FAB358
	v_max3_f32 v62, |v90|, |v91|, v62                          // 00000000D3AC: D1D3033E 04FAB75A
	v_max3_f32 v62, |v92|, |v93|, v62                          // 00000000D3B4: D1D3033E 04FABB5C
	v_max3_f32 v62, |v94|, |v95|, v62                          // 00000000D3BC: D1D3033E 04FABF5E
	s_nop 2                                                    // 00000000D3C4: BF800002
	v_rcp_f32_e32 v62, v62                                     // 00000000D3C8: 7E7C453E
	s_nop 1                                                    // 00000000D3CC: BF800001
	v_mul_f32_e32 v62, 0x43700000, v62                         // 00000000D3D0: 0A7C7CFF 43700000
	v_mul_f32_e32 v144, v62, v240                              // 00000000D3D8: 0B21E13E
	v_mul_f32_e32 v145, v62, v241                              // 00000000D3DC: 0B23E33E
	v_mul_f32_e32 v146, v62, v242                              // 00000000D3E0: 0B25E53E
	v_mul_f32_e32 v147, v62, v243                              // 00000000D3E4: 0B27E73E
	v_mul_f32_e32 v148, v62, v244                              // 00000000D3E8: 0B29E93E
	v_mul_f32_e32 v149, v62, v245                              // 00000000D3EC: 0B2BEB3E
	v_mul_f32_e32 v150, v62, v246                              // 00000000D3F0: 0B2DED3E
	v_mul_f32_e32 v151, v62, v247                              // 00000000D3F4: 0B2FEF3E
	v_mul_f32_e32 v152, v62, v248                              // 00000000D3F8: 0B31F13E
	v_mul_f32_e32 v153, v62, v249                              // 00000000D3FC: 0B33F33E
	v_mul_f32_e32 v154, v62, v250                              // 00000000D400: 0B35F53E
	v_mul_f32_e32 v155, v62, v251                              // 00000000D404: 0B37F73E
	v_mul_f32_e32 v156, v62, v252                              // 00000000D408: 0B39F93E
	v_mul_f32_e32 v157, v62, v253                              // 00000000D40C: 0B3BFB3E
	v_mul_f32_e32 v158, v62, v254                              // 00000000D410: 0B3DFD3E
	v_mul_f32_e32 v159, v62, v255                              // 00000000D414: 0B3FFF3E
	v_cvt_pk_fp8_f32 v144, v144, v145                          // 00000000D418: D2A20090 00032390
	v_cvt_pk_fp8_f32 v144, v146, v147 op_sel:[0,0,1]           // 00000000D420: D2A24090 00032792
	v_cvt_pk_fp8_f32 v145, v148, v149                          // 00000000D428: D2A20091 00032B94
	v_cvt_pk_fp8_f32 v145, v150, v151 op_sel:[0,0,1]           // 00000000D430: D2A24091 00032F96
	v_cvt_pk_fp8_f32 v146, v152, v153                          // 00000000D438: D2A20092 00033398
	v_cvt_pk_fp8_f32 v146, v154, v155 op_sel:[0,0,1]           // 00000000D440: D2A24092 0003379A
	v_cvt_pk_fp8_f32 v147, v156, v157                          // 00000000D448: D2A20093 00033B9C
	v_cvt_pk_fp8_f32 v147, v158, v159 op_sel:[0,0,1]           // 00000000D450: D2A24093 00033F9E
	ds_write_b32 v13, v144 offset:29184                        // 00000000D458: D81A7200 0000900D
	ds_write_b32 v13, v145 offset:30208                        // 00000000D460: D81A7600 0000910D
	ds_write_b32 v13, v146 offset:31232                        // 00000000D468: D81A7A00 0000920D
	ds_write_b32 v13, v147 offset:32256                        // 00000000D470: D81A7E00 0000930D
	v_add_f32_e32 v232, v232, v200                             // 00000000D478: 03D191E8
	v_add_f32_e32 v233, v233, v201                             // 00000000D47C: 03D393E9
	v_add_f32_e32 v234, v234, v202                             // 00000000D480: 03D595EA
	v_add_f32_e32 v235, v235, v203                             // 00000000D484: 03D797EB
	v_add_f32_e32 v236, v236, v204                             // 00000000D488: 03D999EC
	v_add_f32_e32 v237, v237, v205                             // 00000000D48C: 03DB9BED
	v_add_f32_e32 v238, v238, v206                             // 00000000D490: 03DD9DEE
	v_add_f32_e32 v239, v239, v207                             // 00000000D494: 03DF9FEF
	v_rcp_f32_e32 v59, v62                                     // 00000000D498: 7E76453E
	s_waitcnt lgkmcnt(0)                                       // 00000000D49C: BF8CC07F
	s_barrier                                                  // 00000000D4A0: BF8A0000
	ds_read_b64 v[144:145], v12 offset:29184                   // 00000000D4A4: D8EC7200 9000000C
	ds_read_b64 v[146:147], v12 offset:29312                   // 00000000D4AC: D8EC7280 9200000C
	ds_read_b64 v[148:149], v12 offset:30208                   // 00000000D4B4: D8EC7600 9400000C
	ds_read_b64 v[150:151], v12 offset:30336                   // 00000000D4BC: D8EC7680 9600000C
	ds_read_b64 v[152:153], v12 offset:31232                   // 00000000D4C4: D8EC7A00 9800000C
	ds_read_b64 v[154:155], v12 offset:31360                   // 00000000D4CC: D8EC7A80 9A00000C
	ds_read_b64 v[156:157], v12 offset:32256                   // 00000000D4D4: D8EC7E00 9C00000C
	ds_read_b64 v[158:159], v12 offset:32384                   // 00000000D4DC: D8EC7E80 9E00000C
	s_waitcnt vmcnt(15)                                        // 00000000D4E4: BF8C0F7F
	v_mfma_f32_16x16x32_fp8_fp8 v[192:195], a[64:65], v[128:129], 0// 00000000D4E8: D3F300C0 0A030140
	buffer_load_dwordx4 a[112:115], v37, s[20:23], 0 offen offset:1024// 00000000D4F0: E05C1400 80857025
	v_mfma_f32_16x16x32_fp8_fp8 v[192:195], a[66:67], v[130:131], v[192:195]// 00000000D4F8: D3F300C0 0F030542
	v_mfma_f32_16x16x32_fp8_fp8 v[192:195], a[68:69], v[132:133], v[192:195]// 00000000D500: D3F300C0 0F030944
	v_mfma_f32_16x16x32_fp8_fp8 v[192:195], a[70:71], v[134:135], v[192:195]// 00000000D508: D3F300C0 0F030D46
	v_mfma_f32_16x16x32_fp8_fp8 v[192:195], a[72:73], v[136:137], v[192:195]// 00000000D510: D3F300C0 0F031148
	buffer_load_dwordx4 a[116:119], v38, s[20:23], 0 offen offset:1024// 00000000D518: E05C1400 80857426
	v_mfma_f32_16x16x32_fp8_fp8 v[192:195], a[74:75], v[138:139], v[192:195]// 00000000D520: D3F300C0 0F03154A
	v_mfma_f32_16x16x32_fp8_fp8 v[192:195], a[76:77], v[140:141], v[192:195]// 00000000D528: D3F300C0 0F03194C
	v_mfma_f32_16x16x32_fp8_fp8 v[192:195], a[78:79], v[142:143], v[192:195]// 00000000D530: D3F300C0 0F031D4E
	v_mfma_f32_16x16x32_fp8_fp8 v[196:199], a[80:81], v[128:129], 0// 00000000D538: D3F300C4 0A030150
	buffer_load_dwordx4 a[120:123], v39, s[20:23], 0 offen offset:1024// 00000000D540: E05C1400 80857827
	v_mfma_f32_16x16x32_fp8_fp8 v[196:199], a[82:83], v[130:131], v[196:199]// 00000000D548: D3F300C4 0F130552
	v_mfma_f32_16x16x32_fp8_fp8 v[196:199], a[84:85], v[132:133], v[196:199]// 00000000D550: D3F300C4 0F130954
	v_mfma_f32_16x16x32_fp8_fp8 v[196:199], a[86:87], v[134:135], v[196:199]// 00000000D558: D3F300C4 0F130D56
	v_mfma_f32_16x16x32_fp8_fp8 v[196:199], a[88:89], v[136:137], v[196:199]// 00000000D560: D3F300C4 0F131158
	buffer_load_dwordx4 a[124:127], v40, s[20:23], 0 offen offset:1024// 00000000D568: E05C1400 80857C28
	v_mfma_f32_16x16x32_fp8_fp8 v[196:199], a[90:91], v[138:139], v[196:199]// 00000000D570: D3F300C4 0F13155A
	v_mfma_f32_16x16x32_fp8_fp8 v[196:199], a[92:93], v[140:141], v[196:199]// 00000000D578: D3F300C4 0F13195C
	s_lshr_b32 s57, s70, 4                                     // 00000000D580: 8F398446
	s_add_u32 s57, 48, s57                                     // 00000000D584: 803939B0
	v_mfma_f32_16x16x32_fp8_fp8 v[196:199], a[94:95], v[142:143], v[196:199]// 00000000D588: D3F300C4 0F131D5E
	s_cmp_ge_u32 s57, s73                                      // 00000000D590: BF094939
	s_cselect_b32 s56, 0, s56                                  // 00000000D594: 85383880
	v_mfma_f32_16x16x32_fp8_fp8 v[200:203], a[64:65], v[144:145], 0// 00000000D598: D3F300C8 0A032140
	v_mfma_f32_16x16x32_fp8_fp8 v[200:203], a[66:67], v[146:147], v[200:203]// 00000000D5A0: D3F300C8 0F232542
	v_mfma_f32_16x16x32_fp8_fp8 v[200:203], a[68:69], v[148:149], v[200:203]// 00000000D5A8: D3F300C8 0F232944
	v_mfma_f32_16x16x32_fp8_fp8 v[200:203], a[70:71], v[150:151], v[200:203]// 00000000D5B0: D3F300C8 0F232D46
	v_mfma_f32_16x16x32_fp8_fp8 v[200:203], a[72:73], v[152:153], v[200:203]// 00000000D5B8: D3F300C8 0F233148
	v_mfma_f32_16x16x32_fp8_fp8 v[200:203], a[74:75], v[154:155], v[200:203]// 00000000D5C0: D3F300C8 0F23354A
	v_mfma_f32_16x16x32_fp8_fp8 v[200:203], a[76:77], v[156:157], v[200:203]// 00000000D5C8: D3F300C8 0F23394C
	v_mfma_f32_16x16x32_fp8_fp8 v[200:203], a[78:79], v[158:159], v[200:203]// 00000000D5D0: D3F300C8 0F233D4E
	v_mfma_f32_16x16x32_fp8_fp8 v[204:207], a[80:81], v[144:145], 0// 00000000D5D8: D3F300CC 0A032150
	v_mfma_f32_16x16x32_fp8_fp8 v[204:207], a[82:83], v[146:147], v[204:207]// 00000000D5E0: D3F300CC 0F332552
	v_mfma_f32_16x16x32_fp8_fp8 v[204:207], a[84:85], v[148:149], v[204:207]// 00000000D5E8: D3F300CC 0F332954
	v_mfma_f32_16x16x32_fp8_fp8 v[204:207], a[86:87], v[150:151], v[204:207]// 00000000D5F0: D3F300CC 0F332D56
	v_mfma_f32_16x16x32_fp8_fp8 v[204:207], a[88:89], v[152:153], v[204:207]// 00000000D5F8: D3F300CC 0F333158
	v_mfma_f32_16x16x32_fp8_fp8 v[204:207], a[90:91], v[154:155], v[204:207]// 00000000D600: D3F300CC 0F33355A
	v_mfma_f32_16x16x32_fp8_fp8 v[204:207], a[92:93], v[156:157], v[204:207]// 00000000D608: D3F300CC 0F33395C
	v_mfma_f32_16x16x32_fp8_fp8 v[204:207], a[94:95], v[158:159], v[204:207]// 00000000D610: D3F300CC 0F333D5E
	v_add_u32_e32 v1, s56, v1                                  // 00000000D618: 68020238
	s_addk_i32 s70, 0x100                                      // 00000000D61C: B7460100
	s_cmp_lt_i32 s70, s71                                      // 00000000D620: BF044746
	s_cbranch_scc0 label_28C9                                  // 00000000D624: BF84FBBF
	s_waitcnt vmcnt(8) lgkmcnt(0)                              // 00000000D628: BF8C0078
	v_mul_u32_u24_dpp v41, v19, v68 row_newbcast:0 row_mask:0xf bank_mask:0xf// 00000000D62C: 105288FA FF015013
	v_mul_u32_u24_dpp v42, v19, v68 row_newbcast:4 row_mask:0xf bank_mask:0xf// 00000000D634: 105488FA FF015413
	v_mul_u32_u24_dpp v43, v19, v68 row_newbcast:8 row_mask:0xf bank_mask:0xf// 00000000D63C: 105688FA FF015813
	v_mul_u32_u24_dpp v44, v19, v68 row_newbcast:12 row_mask:0xf bank_mask:0xf// 00000000D644: 105888FA FF015C13
	v_add_u32_e32 v25, v41, v6                                 // 00000000D64C: 68320D29
	v_add_u32_e32 v26, v42, v6                                 // 00000000D650: 68340D2A
	v_add_u32_e32 v27, v43, v6                                 // 00000000D654: 68360D2B
	v_add_u32_e32 v28, v44, v6                                 // 00000000D658: 68380D2C
	v_mul_u32_u24_dpp v41, v19, v78 quad_perm:[0,0,0,0] row_mask:0xf bank_mask:0xf// 00000000D65C: 10529CFA FF000013
	v_add_u32_e32 v2, v41, v74                                 // 00000000D664: 68049529
	v_mul_u32_u24_dpp v41, v19, v78 quad_perm:[0,0,0,0] row_mask:0xf bank_mask:0xf// 00000000D668: 10529CFA FF000013
	v_add_u32_e32 v70, v41, v75                                // 00000000D670: 688C9729
	v_mfma_f32_16x16x32_fp8_fp8 v[128:131], a[32:33], v[96:97], 0// 00000000D674: D3F30080 0A02C120
	buffer_load_dwordx4 a[0:3], v25, s[16:19], 0 offen         // 00000000D67C: E05C1000 80840019
	v_mfma_f32_16x16x32_fp8_fp8 v[128:131], a[34:35], v[98:99], v[128:131]// 00000000D684: D3F30080 0E02C522
	v_mfma_f32_16x16x32_fp8_fp8 v[128:131], a[36:37], v[100:101], v[128:131]// 00000000D68C: D3F30080 0E02C924
	buffer_load_dword v20, v1, s[24:27], 0 offen               // 00000000D694: E0501000 80061401
	v_mfma_f32_16x16x32_fp8_fp8 v[128:131], a[38:39], v[102:103], v[128:131]// 00000000D69C: D3F30080 0E02CD26
	v_mfma_f32_16x16x32_fp8_fp8 v[132:135], a[40:41], v[96:97], 0// 00000000D6A4: D3F30084 0A02C128
	buffer_load_dwordx4 a[4:7], v25, s[16:19], 0 offen offset:1024// 00000000D6AC: E05C1400 80840419
	v_mfma_f32_16x16x32_fp8_fp8 v[132:135], a[42:43], v[98:99], v[132:135]// 00000000D6B4: D3F30084 0E12C52A
	v_mfma_f32_16x16x32_fp8_fp8 v[132:135], a[44:45], v[100:101], v[132:135]// 00000000D6BC: D3F30084 0E12C92C
	v_mfma_f32_16x16x32_fp8_fp8 v[132:135], a[46:47], v[102:103], v[132:135]// 00000000D6C4: D3F30084 0E12CD2E
	v_mfma_f32_16x16x32_fp8_fp8 v[136:139], a[48:49], v[96:97], 0// 00000000D6CC: D3F30088 0A02C130
	buffer_load_dwordx4 a[8:11], v26, s[16:19], 0 offen        // 00000000D6D4: E05C1000 8084081A
	v_mfma_f32_16x16x32_fp8_fp8 v[136:139], a[50:51], v[98:99], v[136:139]// 00000000D6DC: D3F30088 0E22C532
	v_mfma_f32_16x16x32_fp8_fp8 v[136:139], a[52:53], v[100:101], v[136:139]// 00000000D6E4: D3F30088 0E22C934
	v_mfma_f32_16x16x32_fp8_fp8 v[136:139], a[54:55], v[102:103], v[136:139]// 00000000D6EC: D3F30088 0E22CD36
	v_mfma_f32_16x16x32_fp8_fp8 v[140:143], a[56:57], v[96:97], 0// 00000000D6F4: D3F3008C 0A02C138
	buffer_load_dwordx4 a[12:15], v26, s[16:19], 0 offen offset:1024// 00000000D6FC: E05C1400 80840C1A
	v_mfma_f32_16x16x32_fp8_fp8 v[140:143], a[58:59], v[98:99], v[140:143]// 00000000D704: D3F3008C 0E32C53A
	v_mfma_f32_16x16x32_fp8_fp8 v[140:143], a[60:61], v[100:101], v[140:143]// 00000000D70C: D3F3008C 0E32C93C
	v_mfma_f32_16x16x32_fp8_fp8 v[140:143], a[62:63], v[102:103], v[140:143]// 00000000D714: D3F3008C 0E32CD3E
	v_mfma_f32_16x16x32_fp8_fp8 v[144:147], a[32:33], v[104:105], 0// 00000000D71C: D3F30090 0A02D120
	v_mfma_f32_16x16x32_fp8_fp8 v[144:147], a[34:35], v[106:107], v[144:147]// 00000000D724: D3F30090 0E42D522
	v_mfma_f32_16x16x32_fp8_fp8 v[144:147], a[36:37], v[108:109], v[144:147]// 00000000D72C: D3F30090 0E42D924
	v_mfma_f32_16x16x32_fp8_fp8 v[144:147], a[38:39], v[110:111], v[144:147]// 00000000D734: D3F30090 0E42DD26
	v_mfma_f32_16x16x32_fp8_fp8 v[148:151], a[40:41], v[104:105], 0// 00000000D73C: D3F30094 0A02D128
	v_mfma_f32_16x16x32_fp8_fp8 v[148:151], a[42:43], v[106:107], v[148:151]// 00000000D744: D3F30094 0E52D52A
	v_mfma_f32_16x16x32_fp8_fp8 v[148:151], a[44:45], v[108:109], v[148:151]// 00000000D74C: D3F30094 0E52D92C
	v_mfma_f32_16x16x32_fp8_fp8 v[148:151], a[46:47], v[110:111], v[148:151]// 00000000D754: D3F30094 0E52DD2E
	v_mfma_f32_16x16x32_fp8_fp8 v[152:155], a[48:49], v[104:105], 0// 00000000D75C: D3F30098 0A02D130
	v_mfma_f32_16x16x32_fp8_fp8 v[152:155], a[50:51], v[106:107], v[152:155]// 00000000D764: D3F30098 0E62D532
	v_mfma_f32_16x16x32_fp8_fp8 v[152:155], a[52:53], v[108:109], v[152:155]// 00000000D76C: D3F30098 0E62D934
	v_mfma_f32_16x16x32_fp8_fp8 v[152:155], a[54:55], v[110:111], v[152:155]// 00000000D774: D3F30098 0E62DD36
	v_mfma_f32_16x16x32_fp8_fp8 v[156:159], a[56:57], v[104:105], 0// 00000000D77C: D3F3009C 0A02D138
	v_mfma_f32_16x16x32_fp8_fp8 v[156:159], a[58:59], v[106:107], v[156:159]// 00000000D784: D3F3009C 0E72D53A
	v_mfma_f32_16x16x32_fp8_fp8 v[156:159], a[60:61], v[108:109], v[156:159]// 00000000D78C: D3F3009C 0E72D93C
	v_mfma_f32_16x16x32_fp8_fp8 v[156:159], a[62:63], v[110:111], v[156:159]// 00000000D794: D3F3009C 0E72DD3E
	buffer_load_dword v52, v2, s[32:35], 0 offen               // 00000000D79C: E0501000 80083402
	v_mov_b32_dpp v41, v53 row_shr:4 row_mask:0xf bank_mask:0xf// 00000000D7A4: 7E5202FA FF011435
	v_mov_b32_dpp v42, v53 row_shl:4 row_mask:0xf bank_mask:0xf// 00000000D7AC: 7E5402FA FF010435
	v_cndmask_b32_e64 v248, v53, v41, s[44:45]                 // 00000000D7B4: D10000F8 00B25335
	v_cndmask_b32_e64 v249, v42, v53, s[44:45]                 // 00000000D7BC: D10000F9 00B26B2A
	v_mov_b32_dpp v41, v248 row_shr:8 row_mask:0xf bank_mask:0xf// 00000000D7C4: 7E5202FA FF0118F8
	v_mov_b32_dpp v42, v248 row_shl:8 row_mask:0xf bank_mask:0xf// 00000000D7CC: 7E5402FA FF0108F8
	v_mov_b32_dpp v43, v249 row_shr:8 row_mask:0xf bank_mask:0xf// 00000000D7D4: 7E5602FA FF0118F9
	v_mov_b32_dpp v44, v249 row_shl:8 row_mask:0xf bank_mask:0xf// 00000000D7DC: 7E5802FA FF0108F9
	v_mov_b32_e32 v45, v248                                    // 00000000D7E4: 7E5A03F8
	v_mov_b32_e32 v46, v249                                    // 00000000D7E8: 7E5C03F9
	v_cndmask_b32_e64 v248, v45, v41, s[42:43]                 // 00000000D7EC: D10000F8 00AA532D
	v_cndmask_b32_e64 v250, v45, v42, s[78:79]                 // 00000000D7F4: D10000FA 013A552D
	v_cndmask_b32_e64 v249, v46, v43, s[42:43]                 // 00000000D7FC: D10000F9 00AA572E
	v_cndmask_b32_e64 v251, v46, v44, s[78:79]                 // 00000000D804: D10000FB 013A592E
	v_mov_b32_dpp v41, v73 row_shr:4 row_mask:0xf bank_mask:0xf// 00000000D80C: 7E5202FA FF011449
	v_mov_b32_dpp v42, v73 row_shl:4 row_mask:0xf bank_mask:0xf// 00000000D814: 7E5402FA FF010449
	v_cndmask_b32_e64 v252, v73, v41, s[44:45]                 // 00000000D81C: D10000FC 00B25349
	v_cndmask_b32_e64 v253, v42, v73, s[44:45]                 // 00000000D824: D10000FD 00B2932A
	v_mov_b32_dpp v41, v252 row_shr:8 row_mask:0xf bank_mask:0xf// 00000000D82C: 7E5202FA FF0118FC
	v_mov_b32_dpp v42, v252 row_shl:8 row_mask:0xf bank_mask:0xf// 00000000D834: 7E5402FA FF0108FC
	v_mov_b32_dpp v43, v253 row_shr:8 row_mask:0xf bank_mask:0xf// 00000000D83C: 7E5602FA FF0118FD
	v_mov_b32_dpp v44, v253 row_shl:8 row_mask:0xf bank_mask:0xf// 00000000D844: 7E5802FA FF0108FD
	v_mov_b32_e32 v45, v252                                    // 00000000D84C: 7E5A03FC
	v_mov_b32_e32 v46, v253                                    // 00000000D850: 7E5C03FD
	v_cndmask_b32_e64 v252, v45, v41, s[42:43]                 // 00000000D854: D10000FC 00AA532D
	v_cndmask_b32_e64 v254, v45, v42, s[78:79]                 // 00000000D85C: D10000FE 013A552D
	v_cndmask_b32_e64 v253, v46, v43, s[42:43]                 // 00000000D864: D10000FD 00AA572E
	v_cndmask_b32_e64 v255, v46, v44, s[78:79]                 // 00000000D86C: D10000FF 013A592E
	buffer_load_dword v72, v70, s[36:39], 0 offen              // 00000000D874: E0501000 80094846
	v_mul_f32_e32 v128, v54, v128                              // 00000000D87C: 0B010136
	v_mul_f32_e32 v129, v54, v129                              // 00000000D880: 0B030336
	v_mul_f32_e32 v130, v54, v130                              // 00000000D884: 0B050536
	v_mul_f32_e32 v131, v54, v131                              // 00000000D888: 0B070736
	v_mul_f32_e32 v132, v54, v132                              // 00000000D88C: 0B090936
	v_mul_f32_e32 v133, v54, v133                              // 00000000D890: 0B0B0B36
	v_mul_f32_e32 v134, v54, v134                              // 00000000D894: 0B0D0D36
	v_mul_f32_e32 v135, v54, v135                              // 00000000D898: 0B0F0F36
	v_mul_f32_e32 v136, v54, v136                              // 00000000D89C: 0B111136
	v_mul_f32_e32 v137, v54, v137                              // 00000000D8A0: 0B131336
	v_mul_f32_e32 v138, v54, v138                              // 00000000D8A4: 0B151536
	v_mul_f32_e32 v139, v54, v139                              // 00000000D8A8: 0B171736
	v_mul_f32_e32 v140, v54, v140                              // 00000000D8AC: 0B191936
	v_mul_f32_e32 v141, v54, v141                              // 00000000D8B0: 0B1B1B36
	v_mul_f32_e32 v142, v54, v142                              // 00000000D8B4: 0B1D1D36
	v_mul_f32_e32 v143, v54, v143                              // 00000000D8B8: 0B1F1F36
	buffer_load_dwordx4 a[16:19], v27, s[16:19], 0 offen       // 00000000D8BC: E05C1000 8084101B
	v_mul_f32_dpp v128, v248, v128 quad_perm:[0,0,0,0] row_mask:0xf bank_mask:0xf// 00000000D8C4: 0B0100FA FF0000F8
	v_mul_f32_dpp v129, v248, v129 quad_perm:[1,1,1,1] row_mask:0xf bank_mask:0xf// 00000000D8CC: 0B0302FA FF0055F8
	v_mul_f32_dpp v130, v248, v130 quad_perm:[2,2,2,2] row_mask:0xf bank_mask:0xf// 00000000D8D4: 0B0504FA FF00AAF8
	v_mul_f32_dpp v131, v248, v131 quad_perm:[3,3,3,3] row_mask:0xf bank_mask:0xf// 00000000D8DC: 0B0706FA FF00FFF8
	v_mul_f32_dpp v132, v249, v132 quad_perm:[0,0,0,0] row_mask:0xf bank_mask:0xf// 00000000D8E4: 0B0908FA FF0000F9
	v_mul_f32_dpp v133, v249, v133 quad_perm:[1,1,1,1] row_mask:0xf bank_mask:0xf// 00000000D8EC: 0B0B0AFA FF0055F9
	v_mul_f32_dpp v134, v249, v134 quad_perm:[2,2,2,2] row_mask:0xf bank_mask:0xf// 00000000D8F4: 0B0D0CFA FF00AAF9
	v_mul_f32_dpp v135, v249, v135 quad_perm:[3,3,3,3] row_mask:0xf bank_mask:0xf// 00000000D8FC: 0B0F0EFA FF00FFF9
	v_mul_f32_dpp v136, v250, v136 quad_perm:[0,0,0,0] row_mask:0xf bank_mask:0xf// 00000000D904: 0B1110FA FF0000FA
	v_mul_f32_dpp v137, v250, v137 quad_perm:[1,1,1,1] row_mask:0xf bank_mask:0xf// 00000000D90C: 0B1312FA FF0055FA
	v_mul_f32_dpp v138, v250, v138 quad_perm:[2,2,2,2] row_mask:0xf bank_mask:0xf// 00000000D914: 0B1514FA FF00AAFA
	v_mul_f32_dpp v139, v250, v139 quad_perm:[3,3,3,3] row_mask:0xf bank_mask:0xf// 00000000D91C: 0B1716FA FF00FFFA
	v_mul_f32_dpp v140, v251, v140 quad_perm:[0,0,0,0] row_mask:0xf bank_mask:0xf// 00000000D924: 0B1918FA FF0000FB
	v_mul_f32_dpp v141, v251, v141 quad_perm:[1,1,1,1] row_mask:0xf bank_mask:0xf// 00000000D92C: 0B1B1AFA FF0055FB
	v_mul_f32_dpp v142, v251, v142 quad_perm:[2,2,2,2] row_mask:0xf bank_mask:0xf// 00000000D934: 0B1D1CFA FF00AAFB
	v_mul_f32_dpp v143, v251, v143 quad_perm:[3,3,3,3] row_mask:0xf bank_mask:0xf// 00000000D93C: 0B1F1EFA FF00FFFB
	buffer_load_dwordx4 a[20:23], v27, s[16:19], 0 offen offset:1024// 00000000D944: E05C1400 8084141B
	v_mov_b32_e32 v62, v128                                    // 00000000D94C: 7E7C0380
	v_max3_f32 v62, v128, v129, v62                            // 00000000D950: D1D3003E 04FB0380
	v_max3_f32 v62, v130, v131, v62                            // 00000000D958: D1D3003E 04FB0782
	v_max3_f32 v62, v132, v133, v62                            // 00000000D960: D1D3003E 04FB0B84
	v_max3_f32 v62, v134, v135, v62                            // 00000000D968: D1D3003E 04FB0F86
	v_max3_f32 v62, v136, v137, v62                            // 00000000D970: D1D3003E 04FB1388
	v_max3_f32 v62, v138, v139, v62                            // 00000000D978: D1D3003E 04FB178A
	v_max3_f32 v62, v140, v141, v62                            // 00000000D980: D1D3003E 04FB1B8C
	v_max3_f32 v62, v142, v143, v62                            // 00000000D988: D1D3003E 04FB1F8E
	ds_write_b32 v11, v62 offset:16896                         // 00000000D990: D81A4200 00003E0B
	buffer_load_dwordx4 a[24:27], v28, s[16:19], 0 offen       // 00000000D998: E05C1000 8084181C
	v_mul_u32_u24_dpp v41, v19, v68 row_newbcast:1 row_mask:0xf bank_mask:0xf// 00000000D9A0: 105288FA FF015113
	v_mul_u32_u24_dpp v42, v19, v68 row_newbcast:5 row_mask:0xf bank_mask:0xf// 00000000D9A8: 105488FA FF015513
	v_mul_u32_u24_dpp v43, v19, v68 row_newbcast:9 row_mask:0xf bank_mask:0xf// 00000000D9B0: 105688FA FF015913
	v_mul_u32_u24_dpp v44, v19, v68 row_newbcast:13 row_mask:0xf bank_mask:0xf// 00000000D9B8: 105888FA FF015D13
	v_add_u32_e32 v33, v41, v7                                 // 00000000D9C0: 68420F29
	v_add_u32_e32 v34, v42, v7                                 // 00000000D9C4: 68440F2A
	v_add_u32_e32 v35, v43, v7                                 // 00000000D9C8: 68460F2B
	v_add_u32_e32 v36, v44, v7                                 // 00000000D9CC: 68480F2C
	v_mul_f32_e32 v224, v63, v224                              // 00000000D9D0: 0BC1C13F
	v_mul_f32_e32 v225, v63, v225                              // 00000000D9D4: 0BC3C33F
	v_mul_f32_e32 v226, v63, v226                              // 00000000D9D8: 0BC5C53F
	v_mul_f32_e32 v227, v63, v227                              // 00000000D9DC: 0BC7C73F
	v_mul_f32_e32 v228, v63, v228                              // 00000000D9E0: 0BC9C93F
	v_mul_f32_e32 v229, v63, v229                              // 00000000D9E4: 0BCBCB3F
	v_mul_f32_e32 v230, v63, v230                              // 00000000D9E8: 0BCDCD3F
	v_mul_f32_e32 v231, v63, v231                              // 00000000D9EC: 0BCFCF3F
	s_waitcnt lgkmcnt(0)                                       // 00000000D9F0: BF8CC07F
	s_barrier                                                  // 00000000D9F4: BF8A0000
	ds_read_b32 v80, v10 offset:16896                          // 00000000D9F8: D86C4200 5000000A
	ds_read_b32 v81, v10 offset:16960                          // 00000000DA00: D86C4240 5100000A
	ds_read_b32 v82, v10 offset:17024                          // 00000000DA08: D86C4280 5200000A
	ds_read_b32 v83, v10 offset:17088                          // 00000000DA10: D86C42C0 5300000A
	ds_read_b32 v84, v10 offset:17152                          // 00000000DA18: D86C4300 5400000A
	ds_read_b32 v85, v10 offset:17216                          // 00000000DA20: D86C4340 5500000A
	ds_read_b32 v86, v10 offset:17280                          // 00000000DA28: D86C4380 5600000A
	ds_read_b32 v87, v10 offset:17344                          // 00000000DA30: D86C43C0 5700000A
	ds_read_b32 v88, v10 offset:17408                          // 00000000DA38: D86C4400 5800000A
	ds_read_b32 v89, v10 offset:17472                          // 00000000DA40: D86C4440 5900000A
	ds_read_b32 v90, v10 offset:17536                          // 00000000DA48: D86C4480 5A00000A
	ds_read_b32 v91, v10 offset:17600                          // 00000000DA50: D86C44C0 5B00000A
	ds_read_b32 v92, v10 offset:17664                          // 00000000DA58: D86C4500 5C00000A
	ds_read_b32 v93, v10 offset:17728                          // 00000000DA60: D86C4540 5D00000A
	ds_read_b32 v94, v10 offset:17792                          // 00000000DA68: D86C4580 5E00000A
	ds_read_b32 v95, v10 offset:17856                          // 00000000DA70: D86C45C0 5F00000A
	buffer_load_dwordx4 a[28:31], v28, s[16:19], 0 offen offset:1024// 00000000DA78: E05C1400 80841C1C
	v_mul_f32_e32 v192, v58, v192                              // 00000000DA80: 0B81813A
	v_mul_f32_e32 v193, v58, v193                              // 00000000DA84: 0B83833A
	v_mul_f32_e32 v194, v58, v194                              // 00000000DA88: 0B85853A
	v_mul_f32_e32 v195, v58, v195                              // 00000000DA8C: 0B87873A
	v_mul_f32_e32 v196, v58, v196                              // 00000000DA90: 0B89893A
	v_mul_f32_e32 v197, v58, v197                              // 00000000DA94: 0B8B8B3A
	v_mul_f32_e32 v198, v58, v198                              // 00000000DA98: 0B8D8D3A
	v_mul_f32_e32 v199, v58, v199                              // 00000000DA9C: 0B8F8F3A
	s_waitcnt lgkmcnt(0)                                       // 00000000DAA0: BF8CC07F
	v_max3_f32 v62, v80, v81, v62                              // 00000000DAA4: D1D3003E 04FAA350
	v_max3_f32 v62, v82, v83, v62                              // 00000000DAAC: D1D3003E 04FAA752
	v_max3_f32 v62, v84, v85, v62                              // 00000000DAB4: D1D3003E 04FAAB54
	v_max3_f32 v62, v86, v87, v62                              // 00000000DABC: D1D3003E 04FAAF56
	v_max3_f32 v62, v88, v89, v62                              // 00000000DAC4: D1D3003E 04FAB358
	v_max3_f32 v62, v90, v91, v62                              // 00000000DACC: D1D3003E 04FAB75A
	v_max3_f32 v62, v92, v93, v62                              // 00000000DAD4: D1D3003E 04FABB5C
	v_max3_f32 v62, v94, v95, v62                              // 00000000DADC: D1D3003E 04FABF5E
	buffer_load_dwordx4 a[64:67], v33, s[20:23], 0 offen       // 00000000DAE4: E05C1000 80854021
	v_mov_b32_e32 v41, 0xff800000                              // 00000000DAEC: 7E5202FF FF800000
	v_cmp_eq_u32_e64 s[40:41], v41, v14                        // 00000000DAF4: D0CA0028 00021D29
	s_nop 1                                                    // 00000000DAFC: BF800001
	v_max_f32_e32 v18, v62, v14                                // 00000000DB00: 16241D3E
	v_mul_f32_e32 v67, s64, v18                                // 00000000DB04: 0A862440
	v_fma_f32 v128, v128, s64, -v67                            // 00000000DB08: D1CB0080 850C8180
	v_fma_f32 v129, v129, s64, -v67                            // 00000000DB10: D1CB0081 850C8181
	v_fma_f32 v130, v130, s64, -v67                            // 00000000DB18: D1CB0082 850C8182
	v_fma_f32 v131, v131, s64, -v67                            // 00000000DB20: D1CB0083 850C8183
	v_fma_f32 v132, v132, s64, -v67                            // 00000000DB28: D1CB0084 850C8184
	v_fma_f32 v133, v133, s64, -v67                            // 00000000DB30: D1CB0085 850C8185
	v_fma_f32 v134, v134, s64, -v67                            // 00000000DB38: D1CB0086 850C8186
	v_fma_f32 v135, v135, s64, -v67                            // 00000000DB40: D1CB0087 850C8187
	v_fma_f32 v136, v136, s64, -v67                            // 00000000DB48: D1CB0088 850C8188
	v_fma_f32 v137, v137, s64, -v67                            // 00000000DB50: D1CB0089 850C8189
	v_fma_f32 v138, v138, s64, -v67                            // 00000000DB58: D1CB008A 850C818A
	v_fma_f32 v139, v139, s64, -v67                            // 00000000DB60: D1CB008B 850C818B
	v_fma_f32 v140, v140, s64, -v67                            // 00000000DB68: D1CB008C 850C818C
	v_fma_f32 v141, v141, s64, -v67                            // 00000000DB70: D1CB008D 850C818D
	v_fma_f32 v142, v142, s64, -v67                            // 00000000DB78: D1CB008E 850C818E
	v_fma_f32 v143, v143, s64, -v67                            // 00000000DB80: D1CB008F 850C818F
	buffer_load_dwordx4 a[68:71], v34, s[20:23], 0 offen       // 00000000DB88: E05C1000 80854422
	v_exp_f32_e32 v128, v128                                   // 00000000DB90: 7F004180
	v_exp_f32_e32 v129, v129                                   // 00000000DB94: 7F024181
	v_exp_f32_e32 v130, v130                                   // 00000000DB98: 7F044182
	v_exp_f32_e32 v131, v131                                   // 00000000DB9C: 7F064183
	v_exp_f32_e32 v132, v132                                   // 00000000DBA0: 7F084184
	v_exp_f32_e32 v133, v133                                   // 00000000DBA4: 7F0A4185
	v_exp_f32_e32 v134, v134                                   // 00000000DBA8: 7F0C4186
	v_exp_f32_e32 v135, v135                                   // 00000000DBAC: 7F0E4187
	v_exp_f32_e32 v136, v136                                   // 00000000DBB0: 7F104188
	v_exp_f32_e32 v137, v137                                   // 00000000DBB4: 7F124189
	v_exp_f32_e32 v138, v138                                   // 00000000DBB8: 7F14418A
	v_exp_f32_e32 v139, v139                                   // 00000000DBBC: 7F16418B
	v_exp_f32_e32 v140, v140                                   // 00000000DBC0: 7F18418C
	v_exp_f32_e32 v141, v141                                   // 00000000DBC4: 7F1A418D
	v_exp_f32_e32 v142, v142                                   // 00000000DBC8: 7F1C418E
	v_exp_f32_e32 v143, v143                                   // 00000000DBCC: 7F1E418F
	buffer_load_dwordx4 a[72:75], v35, s[20:23], 0 offen       // 00000000DBD0: E05C1000 80854823
	v_mul_f32_dpp v240, v252, v128 quad_perm:[0,0,0,0] row_mask:0xf bank_mask:0xf// 00000000DBD8: 0BE100FA FF0000FC
	v_mul_f32_dpp v241, v252, v129 quad_perm:[1,1,1,1] row_mask:0xf bank_mask:0xf// 00000000DBE0: 0BE302FA FF0055FC
	v_mul_f32_dpp v242, v252, v130 quad_perm:[2,2,2,2] row_mask:0xf bank_mask:0xf// 00000000DBE8: 0BE504FA FF00AAFC
	v_mul_f32_dpp v243, v252, v131 quad_perm:[3,3,3,3] row_mask:0xf bank_mask:0xf// 00000000DBF0: 0BE706FA FF00FFFC
	v_mul_f32_dpp v244, v253, v132 quad_perm:[0,0,0,0] row_mask:0xf bank_mask:0xf// 00000000DBF8: 0BE908FA FF0000FD
	v_mul_f32_dpp v245, v253, v133 quad_perm:[1,1,1,1] row_mask:0xf bank_mask:0xf// 00000000DC00: 0BEB0AFA FF0055FD
	v_mul_f32_dpp v246, v253, v134 quad_perm:[2,2,2,2] row_mask:0xf bank_mask:0xf// 00000000DC08: 0BED0CFA FF00AAFD
	v_mul_f32_dpp v247, v253, v135 quad_perm:[3,3,3,3] row_mask:0xf bank_mask:0xf// 00000000DC10: 0BEF0EFA FF00FFFD
	v_mul_f32_dpp v248, v254, v136 quad_perm:[0,0,0,0] row_mask:0xf bank_mask:0xf// 00000000DC18: 0BF110FA FF0000FE
	v_mul_f32_dpp v249, v254, v137 quad_perm:[1,1,1,1] row_mask:0xf bank_mask:0xf// 00000000DC20: 0BF312FA FF0055FE
	v_mul_f32_dpp v250, v254, v138 quad_perm:[2,2,2,2] row_mask:0xf bank_mask:0xf// 00000000DC28: 0BF514FA FF00AAFE
	v_mul_f32_dpp v251, v254, v139 quad_perm:[3,3,3,3] row_mask:0xf bank_mask:0xf// 00000000DC30: 0BF716FA FF00FFFE
	v_mul_f32_dpp v252, v255, v140 quad_perm:[0,0,0,0] row_mask:0xf bank_mask:0xf// 00000000DC38: 0BF918FA FF0000FF
	v_mul_f32_dpp v253, v255, v141 quad_perm:[1,1,1,1] row_mask:0xf bank_mask:0xf// 00000000DC40: 0BFB1AFA FF0055FF
	v_mul_f32_dpp v254, v255, v142 quad_perm:[2,2,2,2] row_mask:0xf bank_mask:0xf// 00000000DC48: 0BFD1CFA FF00AAFF
	v_mul_f32_dpp v255, v255, v143 quad_perm:[3,3,3,3] row_mask:0xf bank_mask:0xf// 00000000DC50: 0BFF1EFA FF00FFFF
	v_mov_b32_e32 v62, 0x358637bd                              // 00000000DC58: 7E7C02FF 358637BD
	v_max3_f32 v62, |v240|, |v241|, v62                        // 00000000DC60: D1D3033E 04FBE3F0
	v_max3_f32 v62, |v242|, |v243|, v62                        // 00000000DC68: D1D3033E 04FBE7F2
	v_max3_f32 v62, |v244|, |v245|, v62                        // 00000000DC70: D1D3033E 04FBEBF4
	v_max3_f32 v62, |v246|, |v247|, v62                        // 00000000DC78: D1D3033E 04FBEFF6
	v_max3_f32 v62, |v248|, |v249|, v62                        // 00000000DC80: D1D3033E 04FBF3F8
	v_max3_f32 v62, |v250|, |v251|, v62                        // 00000000DC88: D1D3033E 04FBF7FA
	v_max3_f32 v62, |v252|, |v253|, v62                        // 00000000DC90: D1D3033E 04FBFBFC
	v_max3_f32 v62, |v254|, |v255|, v62                        // 00000000DC98: D1D3033E 04FBFFFE
	buffer_load_dwordx4 a[76:79], v36, s[20:23], 0 offen       // 00000000DCA0: E05C1000 80854C24
	ds_write_b32 v11, v62 offset:20992                         // 00000000DCA8: D81A5200 00003E0B
	v_sub_f32_e32 v63, v14, v18                                // 00000000DCB0: 047E250E
	v_cndmask_b32_e64 v63, v63, 0, s[40:41]                    // 00000000DCB4: D100003F 00A1013F
	v_mov_b32_e32 v14, v18                                     // 00000000DCBC: 7E1C0312
	v_mul_f32_e32 v63, s64, v63                                // 00000000DCC0: 0A7E7E40
	v_exp_f32_e32 v63, v63                                     // 00000000DCC4: 7E7E413F
	s_waitcnt lgkmcnt(0)                                       // 00000000DCC8: BF8CC07F
	s_barrier                                                  // 00000000DCCC: BF8A0000
	ds_read_b32 v80, v10 offset:20992                          // 00000000DCD0: D86C5200 5000000A
	ds_read_b32 v81, v10 offset:21056                          // 00000000DCD8: D86C5240 5100000A
	ds_read_b32 v82, v10 offset:21120                          // 00000000DCE0: D86C5280 5200000A
	ds_read_b32 v83, v10 offset:21184                          // 00000000DCE8: D86C52C0 5300000A
	ds_read_b32 v84, v10 offset:21248                          // 00000000DCF0: D86C5300 5400000A
	ds_read_b32 v85, v10 offset:21312                          // 00000000DCF8: D86C5340 5500000A
	ds_read_b32 v86, v10 offset:21376                          // 00000000DD00: D86C5380 5600000A
	ds_read_b32 v87, v10 offset:21440                          // 00000000DD08: D86C53C0 5700000A
	ds_read_b32 v88, v10 offset:21504                          // 00000000DD10: D86C5400 5800000A
	ds_read_b32 v89, v10 offset:21568                          // 00000000DD18: D86C5440 5900000A
	ds_read_b32 v90, v10 offset:21632                          // 00000000DD20: D86C5480 5A00000A
	ds_read_b32 v91, v10 offset:21696                          // 00000000DD28: D86C54C0 5B00000A
	ds_read_b32 v92, v10 offset:21760                          // 00000000DD30: D86C5500 5C00000A
	ds_read_b32 v93, v10 offset:21824                          // 00000000DD38: D86C5540 5D00000A
	ds_read_b32 v94, v10 offset:21888                          // 00000000DD40: D86C5580 5E00000A
	ds_read_b32 v95, v10 offset:21952                          // 00000000DD48: D86C55C0 5F00000A
	v_mul_f32_e32 v47, v63, v47                                // 00000000DD50: 0A5E5F3F
	v_mov_b32_e32 v18, v128                                    // 00000000DD54: 7E240380
	v_add_f32_e32 v18, v129, v18                               // 00000000DD58: 02242581
	v_add_f32_e32 v18, v130, v18                               // 00000000DD5C: 02242582
	v_add_f32_e32 v18, v131, v18                               // 00000000DD60: 02242583
	v_add_f32_e32 v18, v132, v18                               // 00000000DD64: 02242584
	v_add_f32_e32 v18, v133, v18                               // 00000000DD68: 02242585
	v_add_f32_e32 v18, v134, v18                               // 00000000DD6C: 02242586
	v_add_f32_e32 v18, v135, v18                               // 00000000DD70: 02242587
	v_add_f32_e32 v18, v136, v18                               // 00000000DD74: 02242588
	v_add_f32_e32 v18, v137, v18                               // 00000000DD78: 02242589
	v_add_f32_e32 v18, v138, v18                               // 00000000DD7C: 0224258A
	v_add_f32_e32 v18, v139, v18                               // 00000000DD80: 0224258B
	v_add_f32_e32 v18, v140, v18                               // 00000000DD84: 0224258C
	v_add_f32_e32 v18, v141, v18                               // 00000000DD88: 0224258D
	v_add_f32_e32 v18, v142, v18                               // 00000000DD8C: 0224258E
	v_add_f32_e32 v18, v143, v18                               // 00000000DD90: 0224258F
	v_add_f32_e32 v47, v18, v47                                // 00000000DD94: 025E5F12
	s_waitcnt lgkmcnt(0)                                       // 00000000DD98: BF8CC07F
	v_max3_f32 v62, |v80|, |v81|, v62                          // 00000000DD9C: D1D3033E 04FAA350
	v_max3_f32 v62, |v82|, |v83|, v62                          // 00000000DDA4: D1D3033E 04FAA752
	v_max3_f32 v62, |v84|, |v85|, v62                          // 00000000DDAC: D1D3033E 04FAAB54
	v_max3_f32 v62, |v86|, |v87|, v62                          // 00000000DDB4: D1D3033E 04FAAF56
	v_max3_f32 v62, |v88|, |v89|, v62                          // 00000000DDBC: D1D3033E 04FAB358
	v_max3_f32 v62, |v90|, |v91|, v62                          // 00000000DDC4: D1D3033E 04FAB75A
	v_max3_f32 v62, |v92|, |v93|, v62                          // 00000000DDCC: D1D3033E 04FABB5C
	v_max3_f32 v62, |v94|, |v95|, v62                          // 00000000DDD4: D1D3033E 04FABF5E
	s_nop 2                                                    // 00000000DDDC: BF800002
	v_rcp_f32_e32 v62, v62                                     // 00000000DDE0: 7E7C453E
	s_nop 1                                                    // 00000000DDE4: BF800001
	v_mul_f32_e32 v62, 0x43700000, v62                         // 00000000DDE8: 0A7C7CFF 43700000
	v_mul_f32_e32 v128, v62, v240                              // 00000000DDF0: 0B01E13E
	v_mul_f32_e32 v129, v62, v241                              // 00000000DDF4: 0B03E33E
	v_mul_f32_e32 v130, v62, v242                              // 00000000DDF8: 0B05E53E
	v_mul_f32_e32 v131, v62, v243                              // 00000000DDFC: 0B07E73E
	v_mul_f32_e32 v132, v62, v244                              // 00000000DE00: 0B09E93E
	v_mul_f32_e32 v133, v62, v245                              // 00000000DE04: 0B0BEB3E
	v_mul_f32_e32 v134, v62, v246                              // 00000000DE08: 0B0DED3E
	v_mul_f32_e32 v135, v62, v247                              // 00000000DE0C: 0B0FEF3E
	v_mul_f32_e32 v136, v62, v248                              // 00000000DE10: 0B11F13E
	v_mul_f32_e32 v137, v62, v249                              // 00000000DE14: 0B13F33E
	v_mul_f32_e32 v138, v62, v250                              // 00000000DE18: 0B15F53E
	v_mul_f32_e32 v139, v62, v251                              // 00000000DE1C: 0B17F73E
	v_mul_f32_e32 v140, v62, v252                              // 00000000DE20: 0B19F93E
	v_mul_f32_e32 v141, v62, v253                              // 00000000DE24: 0B1BFB3E
	v_mul_f32_e32 v142, v62, v254                              // 00000000DE28: 0B1DFD3E
	v_mul_f32_e32 v143, v62, v255                              // 00000000DE2C: 0B1FFF3E
	v_cvt_pk_fp8_f32 v128, v128, v129                          // 00000000DE30: D2A20080 00030380
	v_cvt_pk_fp8_f32 v128, v130, v131 op_sel:[0,0,1]           // 00000000DE38: D2A24080 00030782
	v_cvt_pk_fp8_f32 v129, v132, v133                          // 00000000DE40: D2A20081 00030B84
	v_cvt_pk_fp8_f32 v129, v134, v135 op_sel:[0,0,1]           // 00000000DE48: D2A24081 00030F86
	v_cvt_pk_fp8_f32 v130, v136, v137                          // 00000000DE50: D2A20082 00031388
	v_cvt_pk_fp8_f32 v130, v138, v139 op_sel:[0,0,1]           // 00000000DE58: D2A24082 0003178A
	v_cvt_pk_fp8_f32 v131, v140, v141                          // 00000000DE60: D2A20083 00031B8C
	v_cvt_pk_fp8_f32 v131, v142, v143 op_sel:[0,0,1]           // 00000000DE68: D2A24083 00031F8E
	ds_write_b32 v13, v128 offset:25088                        // 00000000DE70: D81A6200 0000800D
	ds_write_b32 v13, v129 offset:26112                        // 00000000DE78: D81A6600 0000810D
	ds_write_b32 v13, v130 offset:27136                        // 00000000DE80: D81A6A00 0000820D
	ds_write_b32 v13, v131 offset:28160                        // 00000000DE88: D81A6E00 0000830D
	v_add_f32_e32 v224, v224, v192                             // 00000000DE90: 03C181E0
	v_add_f32_e32 v225, v225, v193                             // 00000000DE94: 03C383E1
	v_add_f32_e32 v226, v226, v194                             // 00000000DE98: 03C585E2
	v_add_f32_e32 v227, v227, v195                             // 00000000DE9C: 03C787E3
	v_add_f32_e32 v228, v228, v196                             // 00000000DEA0: 03C989E4
	v_add_f32_e32 v229, v229, v197                             // 00000000DEA4: 03CB8BE5
	v_add_f32_e32 v230, v230, v198                             // 00000000DEA8: 03CD8DE6
	v_add_f32_e32 v231, v231, v199                             // 00000000DEAC: 03CF8FE7
	v_rcp_f32_e32 v58, v62                                     // 00000000DEB0: 7E74453E
	s_waitcnt lgkmcnt(0)                                       // 00000000DEB4: BF8CC07F
	s_barrier                                                  // 00000000DEB8: BF8A0000
	ds_read_b64 v[128:129], v12 offset:25088                   // 00000000DEBC: D8EC6200 8000000C
	ds_read_b64 v[130:131], v12 offset:25216                   // 00000000DEC4: D8EC6280 8200000C
	ds_read_b64 v[132:133], v12 offset:26112                   // 00000000DECC: D8EC6600 8400000C
	ds_read_b64 v[134:135], v12 offset:26240                   // 00000000DED4: D8EC6680 8600000C
	ds_read_b64 v[136:137], v12 offset:27136                   // 00000000DEDC: D8EC6A00 8800000C
	ds_read_b64 v[138:139], v12 offset:27264                   // 00000000DEE4: D8EC6A80 8A00000C
	ds_read_b64 v[140:141], v12 offset:28160                   // 00000000DEEC: D8EC6E00 8C00000C
	ds_read_b64 v[142:143], v12 offset:28288                   // 00000000DEF4: D8EC6E80 8E00000C
	v_mov_b32_dpp v41, v53 row_shr:4 row_mask:0xf bank_mask:0xf// 00000000DEFC: 7E5202FA FF011435
	v_mov_b32_dpp v42, v53 row_shl:4 row_mask:0xf bank_mask:0xf// 00000000DF04: 7E5402FA FF010435
	v_cndmask_b32_e64 v248, v53, v41, s[44:45]                 // 00000000DF0C: D10000F8 00B25335
	v_cndmask_b32_e64 v249, v42, v53, s[44:45]                 // 00000000DF14: D10000F9 00B26B2A
	v_mov_b32_dpp v41, v248 row_shr:8 row_mask:0xf bank_mask:0xf// 00000000DF1C: 7E5202FA FF0118F8
	v_mov_b32_dpp v42, v248 row_shl:8 row_mask:0xf bank_mask:0xf// 00000000DF24: 7E5402FA FF0108F8
	v_mov_b32_dpp v43, v249 row_shr:8 row_mask:0xf bank_mask:0xf// 00000000DF2C: 7E5602FA FF0118F9
	v_mov_b32_dpp v44, v249 row_shl:8 row_mask:0xf bank_mask:0xf// 00000000DF34: 7E5802FA FF0108F9
	v_mov_b32_e32 v45, v248                                    // 00000000DF3C: 7E5A03F8
	v_mov_b32_e32 v46, v249                                    // 00000000DF40: 7E5C03F9
	v_cndmask_b32_e64 v248, v45, v41, s[42:43]                 // 00000000DF44: D10000F8 00AA532D
	v_cndmask_b32_e64 v250, v45, v42, s[78:79]                 // 00000000DF4C: D10000FA 013A552D
	v_cndmask_b32_e64 v249, v46, v43, s[42:43]                 // 00000000DF54: D10000F9 00AA572E
	v_cndmask_b32_e64 v251, v46, v44, s[78:79]                 // 00000000DF5C: D10000FB 013A592E
	v_mov_b32_dpp v41, v73 row_shr:4 row_mask:0xf bank_mask:0xf// 00000000DF64: 7E5202FA FF011449
	v_mov_b32_dpp v42, v73 row_shl:4 row_mask:0xf bank_mask:0xf// 00000000DF6C: 7E5402FA FF010449
	v_cndmask_b32_e64 v252, v73, v41, s[44:45]                 // 00000000DF74: D10000FC 00B25349
	v_cndmask_b32_e64 v253, v42, v73, s[44:45]                 // 00000000DF7C: D10000FD 00B2932A
	v_mov_b32_dpp v41, v252 row_shr:8 row_mask:0xf bank_mask:0xf// 00000000DF84: 7E5202FA FF0118FC
	v_mov_b32_dpp v42, v252 row_shl:8 row_mask:0xf bank_mask:0xf// 00000000DF8C: 7E5402FA FF0108FC
	v_mov_b32_dpp v43, v253 row_shr:8 row_mask:0xf bank_mask:0xf// 00000000DF94: 7E5602FA FF0118FD
	v_mov_b32_dpp v44, v253 row_shl:8 row_mask:0xf bank_mask:0xf// 00000000DF9C: 7E5802FA FF0108FD
	v_mov_b32_e32 v45, v252                                    // 00000000DFA4: 7E5A03FC
	v_mov_b32_e32 v46, v253                                    // 00000000DFA8: 7E5C03FD
	v_cndmask_b32_e64 v252, v45, v41, s[42:43]                 // 00000000DFAC: D10000FC 00AA532D
	v_cndmask_b32_e64 v254, v45, v42, s[78:79]                 // 00000000DFB4: D10000FE 013A552D
	v_cndmask_b32_e64 v253, v46, v43, s[42:43]                 // 00000000DFBC: D10000FD 00AA572E
	v_cndmask_b32_e64 v255, v46, v44, s[78:79]                 // 00000000DFC4: D10000FF 013A592E
	v_mul_f32_e32 v144, v55, v144                              // 00000000DFCC: 0B212137
	v_mul_f32_e32 v145, v55, v145                              // 00000000DFD0: 0B232337
	v_mul_f32_e32 v146, v55, v146                              // 00000000DFD4: 0B252537
	v_mul_f32_e32 v147, v55, v147                              // 00000000DFD8: 0B272737
	v_mul_f32_e32 v148, v55, v148                              // 00000000DFDC: 0B292937
	v_mul_f32_e32 v149, v55, v149                              // 00000000DFE0: 0B2B2B37
	v_mul_f32_e32 v150, v55, v150                              // 00000000DFE4: 0B2D2D37
	v_mul_f32_e32 v151, v55, v151                              // 00000000DFE8: 0B2F2F37
	v_mul_f32_e32 v152, v55, v152                              // 00000000DFEC: 0B313137
	v_mul_f32_e32 v153, v55, v153                              // 00000000DFF0: 0B333337
	v_mul_f32_e32 v154, v55, v154                              // 00000000DFF4: 0B353537
	v_mul_f32_e32 v155, v55, v155                              // 00000000DFF8: 0B373737
	v_mul_f32_e32 v156, v55, v156                              // 00000000DFFC: 0B393937
	v_mul_f32_e32 v157, v55, v157                              // 00000000E000: 0B3B3B37
	v_mul_f32_e32 v158, v55, v158                              // 00000000E004: 0B3D3D37
	v_mul_f32_e32 v159, v55, v159                              // 00000000E008: 0B3F3F37
	v_mul_f32_dpp v144, v248, v144 quad_perm:[0,0,0,0] row_mask:0xf bank_mask:0xf// 00000000E00C: 0B2120FA FF0000F8
	v_mul_f32_dpp v145, v248, v145 quad_perm:[1,1,1,1] row_mask:0xf bank_mask:0xf// 00000000E014: 0B2322FA FF0055F8
	v_mul_f32_dpp v146, v248, v146 quad_perm:[2,2,2,2] row_mask:0xf bank_mask:0xf// 00000000E01C: 0B2524FA FF00AAF8
	v_mul_f32_dpp v147, v248, v147 quad_perm:[3,3,3,3] row_mask:0xf bank_mask:0xf// 00000000E024: 0B2726FA FF00FFF8
	v_mul_f32_dpp v148, v249, v148 quad_perm:[0,0,0,0] row_mask:0xf bank_mask:0xf// 00000000E02C: 0B2928FA FF0000F9
	v_mul_f32_dpp v149, v249, v149 quad_perm:[1,1,1,1] row_mask:0xf bank_mask:0xf// 00000000E034: 0B2B2AFA FF0055F9
	v_mul_f32_dpp v150, v249, v150 quad_perm:[2,2,2,2] row_mask:0xf bank_mask:0xf// 00000000E03C: 0B2D2CFA FF00AAF9
	v_mul_f32_dpp v151, v249, v151 quad_perm:[3,3,3,3] row_mask:0xf bank_mask:0xf// 00000000E044: 0B2F2EFA FF00FFF9
	v_mul_f32_dpp v152, v250, v152 quad_perm:[0,0,0,0] row_mask:0xf bank_mask:0xf// 00000000E04C: 0B3130FA FF0000FA
	v_mul_f32_dpp v153, v250, v153 quad_perm:[1,1,1,1] row_mask:0xf bank_mask:0xf// 00000000E054: 0B3332FA FF0055FA
	v_mul_f32_dpp v154, v250, v154 quad_perm:[2,2,2,2] row_mask:0xf bank_mask:0xf// 00000000E05C: 0B3534FA FF00AAFA
	v_mul_f32_dpp v155, v250, v155 quad_perm:[3,3,3,3] row_mask:0xf bank_mask:0xf// 00000000E064: 0B3736FA FF00FFFA
	v_mul_f32_dpp v156, v251, v156 quad_perm:[0,0,0,0] row_mask:0xf bank_mask:0xf// 00000000E06C: 0B3938FA FF0000FB
	v_mul_f32_dpp v157, v251, v157 quad_perm:[1,1,1,1] row_mask:0xf bank_mask:0xf// 00000000E074: 0B3B3AFA FF0055FB
	v_mul_f32_dpp v158, v251, v158 quad_perm:[2,2,2,2] row_mask:0xf bank_mask:0xf// 00000000E07C: 0B3D3CFA FF00AAFB
	v_mul_f32_dpp v159, v251, v159 quad_perm:[3,3,3,3] row_mask:0xf bank_mask:0xf// 00000000E084: 0B3F3EFA FF00FFFB
	v_mov_b32_e32 v62, v144                                    // 00000000E08C: 7E7C0390
	v_max3_f32 v62, v144, v145, v62                            // 00000000E090: D1D3003E 04FB2390
	v_max3_f32 v62, v146, v147, v62                            // 00000000E098: D1D3003E 04FB2792
	v_max3_f32 v62, v148, v149, v62                            // 00000000E0A0: D1D3003E 04FB2B94
	v_max3_f32 v62, v150, v151, v62                            // 00000000E0A8: D1D3003E 04FB2F96
	v_max3_f32 v62, v152, v153, v62                            // 00000000E0B0: D1D3003E 04FB3398
	v_max3_f32 v62, v154, v155, v62                            // 00000000E0B8: D1D3003E 04FB379A
	v_max3_f32 v62, v156, v157, v62                            // 00000000E0C0: D1D3003E 04FB3B9C
	v_max3_f32 v62, v158, v159, v62                            // 00000000E0C8: D1D3003E 04FB3F9E
	ds_write_b32 v11, v62 offset:16896                         // 00000000E0D0: D81A4200 00003E0B
	v_mul_f32_e32 v232, v64, v232                              // 00000000E0D8: 0BD1D140
	v_mul_f32_e32 v233, v64, v233                              // 00000000E0DC: 0BD3D340
	v_mul_f32_e32 v234, v64, v234                              // 00000000E0E0: 0BD5D540
	v_mul_f32_e32 v235, v64, v235                              // 00000000E0E4: 0BD7D740
	v_mul_f32_e32 v236, v64, v236                              // 00000000E0E8: 0BD9D940
	v_mul_f32_e32 v237, v64, v237                              // 00000000E0EC: 0BDBDB40
	v_mul_f32_e32 v238, v64, v238                              // 00000000E0F0: 0BDDDD40
	v_mul_f32_e32 v239, v64, v239                              // 00000000E0F4: 0BDFDF40
	s_waitcnt lgkmcnt(0)                                       // 00000000E0F8: BF8CC07F
	s_barrier                                                  // 00000000E0FC: BF8A0000
	ds_read_b32 v80, v10 offset:16896                          // 00000000E100: D86C4200 5000000A
	ds_read_b32 v81, v10 offset:16960                          // 00000000E108: D86C4240 5100000A
	ds_read_b32 v82, v10 offset:17024                          // 00000000E110: D86C4280 5200000A
	ds_read_b32 v83, v10 offset:17088                          // 00000000E118: D86C42C0 5300000A
	ds_read_b32 v84, v10 offset:17152                          // 00000000E120: D86C4300 5400000A
	ds_read_b32 v85, v10 offset:17216                          // 00000000E128: D86C4340 5500000A
	ds_read_b32 v86, v10 offset:17280                          // 00000000E130: D86C4380 5600000A
	ds_read_b32 v87, v10 offset:17344                          // 00000000E138: D86C43C0 5700000A
	ds_read_b32 v88, v10 offset:17408                          // 00000000E140: D86C4400 5800000A
	ds_read_b32 v89, v10 offset:17472                          // 00000000E148: D86C4440 5900000A
	ds_read_b32 v90, v10 offset:17536                          // 00000000E150: D86C4480 5A00000A
	ds_read_b32 v91, v10 offset:17600                          // 00000000E158: D86C44C0 5B00000A
	ds_read_b32 v92, v10 offset:17664                          // 00000000E160: D86C4500 5C00000A
	ds_read_b32 v93, v10 offset:17728                          // 00000000E168: D86C4540 5D00000A
	ds_read_b32 v94, v10 offset:17792                          // 00000000E170: D86C4580 5E00000A
	ds_read_b32 v95, v10 offset:17856                          // 00000000E178: D86C45C0 5F00000A
	v_mul_f32_e32 v200, v59, v200                              // 00000000E180: 0B91913B
	v_mul_f32_e32 v201, v59, v201                              // 00000000E184: 0B93933B
	v_mul_f32_e32 v202, v59, v202                              // 00000000E188: 0B95953B
	v_mul_f32_e32 v203, v59, v203                              // 00000000E18C: 0B97973B
	v_mul_f32_e32 v204, v59, v204                              // 00000000E190: 0B99993B
	v_mul_f32_e32 v205, v59, v205                              // 00000000E194: 0B9B9B3B
	v_mul_f32_e32 v206, v59, v206                              // 00000000E198: 0B9D9D3B
	v_mul_f32_e32 v207, v59, v207                              // 00000000E19C: 0B9F9F3B
	s_waitcnt lgkmcnt(0)                                       // 00000000E1A0: BF8CC07F
	v_max3_f32 v62, v80, v81, v62                              // 00000000E1A4: D1D3003E 04FAA350
	v_max3_f32 v62, v82, v83, v62                              // 00000000E1AC: D1D3003E 04FAA752
	v_max3_f32 v62, v84, v85, v62                              // 00000000E1B4: D1D3003E 04FAAB54
	v_max3_f32 v62, v86, v87, v62                              // 00000000E1BC: D1D3003E 04FAAF56
	v_max3_f32 v62, v88, v89, v62                              // 00000000E1C4: D1D3003E 04FAB358
	v_max3_f32 v62, v90, v91, v62                              // 00000000E1CC: D1D3003E 04FAB75A
	v_max3_f32 v62, v92, v93, v62                              // 00000000E1D4: D1D3003E 04FABB5C
	v_max3_f32 v62, v94, v95, v62                              // 00000000E1DC: D1D3003E 04FABF5E
	v_mov_b32_e32 v41, 0xff800000                              // 00000000E1E4: 7E5202FF FF800000
	v_cmp_eq_u32_e64 s[40:41], v41, v15                        // 00000000E1EC: D0CA0028 00021F29
	s_nop 1                                                    // 00000000E1F4: BF800001
	v_max_f32_e32 v18, v62, v15                                // 00000000E1F8: 16241F3E
	v_mul_f32_e32 v67, s64, v18                                // 00000000E1FC: 0A862440
	v_fma_f32 v144, v144, s64, -v67                            // 00000000E200: D1CB0090 850C8190
	v_fma_f32 v145, v145, s64, -v67                            // 00000000E208: D1CB0091 850C8191
	v_fma_f32 v146, v146, s64, -v67                            // 00000000E210: D1CB0092 850C8192
	v_fma_f32 v147, v147, s64, -v67                            // 00000000E218: D1CB0093 850C8193
	v_fma_f32 v148, v148, s64, -v67                            // 00000000E220: D1CB0094 850C8194
	v_fma_f32 v149, v149, s64, -v67                            // 00000000E228: D1CB0095 850C8195
	v_fma_f32 v150, v150, s64, -v67                            // 00000000E230: D1CB0096 850C8196
	v_fma_f32 v151, v151, s64, -v67                            // 00000000E238: D1CB0097 850C8197
	v_fma_f32 v152, v152, s64, -v67                            // 00000000E240: D1CB0098 850C8198
	v_fma_f32 v153, v153, s64, -v67                            // 00000000E248: D1CB0099 850C8199
	v_fma_f32 v154, v154, s64, -v67                            // 00000000E250: D1CB009A 850C819A
	v_fma_f32 v155, v155, s64, -v67                            // 00000000E258: D1CB009B 850C819B
	v_fma_f32 v156, v156, s64, -v67                            // 00000000E260: D1CB009C 850C819C
	v_fma_f32 v157, v157, s64, -v67                            // 00000000E268: D1CB009D 850C819D
	v_fma_f32 v158, v158, s64, -v67                            // 00000000E270: D1CB009E 850C819E
	v_fma_f32 v159, v159, s64, -v67                            // 00000000E278: D1CB009F 850C819F
	v_exp_f32_e32 v144, v144                                   // 00000000E280: 7F204190
	v_exp_f32_e32 v145, v145                                   // 00000000E284: 7F224191
	v_exp_f32_e32 v146, v146                                   // 00000000E288: 7F244192
	v_exp_f32_e32 v147, v147                                   // 00000000E28C: 7F264193
	v_exp_f32_e32 v148, v148                                   // 00000000E290: 7F284194
	v_exp_f32_e32 v149, v149                                   // 00000000E294: 7F2A4195
	v_exp_f32_e32 v150, v150                                   // 00000000E298: 7F2C4196
	v_exp_f32_e32 v151, v151                                   // 00000000E29C: 7F2E4197
	v_exp_f32_e32 v152, v152                                   // 00000000E2A0: 7F304198
	v_exp_f32_e32 v153, v153                                   // 00000000E2A4: 7F324199
	v_exp_f32_e32 v154, v154                                   // 00000000E2A8: 7F34419A
	v_exp_f32_e32 v155, v155                                   // 00000000E2AC: 7F36419B
	v_exp_f32_e32 v156, v156                                   // 00000000E2B0: 7F38419C
	v_exp_f32_e32 v157, v157                                   // 00000000E2B4: 7F3A419D
	v_exp_f32_e32 v158, v158                                   // 00000000E2B8: 7F3C419E
	v_exp_f32_e32 v159, v159                                   // 00000000E2BC: 7F3E419F
	v_mul_f32_dpp v240, v252, v144 quad_perm:[0,0,0,0] row_mask:0xf bank_mask:0xf// 00000000E2C0: 0BE120FA FF0000FC
	v_mul_f32_dpp v241, v252, v145 quad_perm:[1,1,1,1] row_mask:0xf bank_mask:0xf// 00000000E2C8: 0BE322FA FF0055FC
	v_mul_f32_dpp v242, v252, v146 quad_perm:[2,2,2,2] row_mask:0xf bank_mask:0xf// 00000000E2D0: 0BE524FA FF00AAFC
	v_mul_f32_dpp v243, v252, v147 quad_perm:[3,3,3,3] row_mask:0xf bank_mask:0xf// 00000000E2D8: 0BE726FA FF00FFFC
	v_mul_f32_dpp v244, v253, v148 quad_perm:[0,0,0,0] row_mask:0xf bank_mask:0xf// 00000000E2E0: 0BE928FA FF0000FD
	v_mul_f32_dpp v245, v253, v149 quad_perm:[1,1,1,1] row_mask:0xf bank_mask:0xf// 00000000E2E8: 0BEB2AFA FF0055FD
	v_mul_f32_dpp v246, v253, v150 quad_perm:[2,2,2,2] row_mask:0xf bank_mask:0xf// 00000000E2F0: 0BED2CFA FF00AAFD
	v_mul_f32_dpp v247, v253, v151 quad_perm:[3,3,3,3] row_mask:0xf bank_mask:0xf// 00000000E2F8: 0BEF2EFA FF00FFFD
	v_mul_f32_dpp v248, v254, v152 quad_perm:[0,0,0,0] row_mask:0xf bank_mask:0xf// 00000000E300: 0BF130FA FF0000FE
	v_mul_f32_dpp v249, v254, v153 quad_perm:[1,1,1,1] row_mask:0xf bank_mask:0xf// 00000000E308: 0BF332FA FF0055FE
	v_mul_f32_dpp v250, v254, v154 quad_perm:[2,2,2,2] row_mask:0xf bank_mask:0xf// 00000000E310: 0BF534FA FF00AAFE
	v_mul_f32_dpp v251, v254, v155 quad_perm:[3,3,3,3] row_mask:0xf bank_mask:0xf// 00000000E318: 0BF736FA FF00FFFE
	v_mul_f32_dpp v252, v255, v156 quad_perm:[0,0,0,0] row_mask:0xf bank_mask:0xf// 00000000E320: 0BF938FA FF0000FF
	v_mul_f32_dpp v253, v255, v157 quad_perm:[1,1,1,1] row_mask:0xf bank_mask:0xf// 00000000E328: 0BFB3AFA FF0055FF
	v_mul_f32_dpp v254, v255, v158 quad_perm:[2,2,2,2] row_mask:0xf bank_mask:0xf// 00000000E330: 0BFD3CFA FF00AAFF
	v_mul_f32_dpp v255, v255, v159 quad_perm:[3,3,3,3] row_mask:0xf bank_mask:0xf// 00000000E338: 0BFF3EFA FF00FFFF
	v_mov_b32_e32 v62, 0x358637bd                              // 00000000E340: 7E7C02FF 358637BD
	v_max3_f32 v62, |v240|, |v241|, v62                        // 00000000E348: D1D3033E 04FBE3F0
	v_max3_f32 v62, |v242|, |v243|, v62                        // 00000000E350: D1D3033E 04FBE7F2
	v_max3_f32 v62, |v244|, |v245|, v62                        // 00000000E358: D1D3033E 04FBEBF4
	v_max3_f32 v62, |v246|, |v247|, v62                        // 00000000E360: D1D3033E 04FBEFF6
	v_max3_f32 v62, |v248|, |v249|, v62                        // 00000000E368: D1D3033E 04FBF3F8
	v_max3_f32 v62, |v250|, |v251|, v62                        // 00000000E370: D1D3033E 04FBF7FA
	v_max3_f32 v62, |v252|, |v253|, v62                        // 00000000E378: D1D3033E 04FBFBFC
	v_max3_f32 v62, |v254|, |v255|, v62                        // 00000000E380: D1D3033E 04FBFFFE
	ds_write_b32 v11, v62 offset:20992                         // 00000000E388: D81A5200 00003E0B
	v_sub_f32_e32 v64, v15, v18                                // 00000000E390: 0480250F
	v_cndmask_b32_e64 v64, v64, 0, s[40:41]                    // 00000000E394: D1000040 00A10140
	v_mov_b32_e32 v15, v18                                     // 00000000E39C: 7E1E0312
	v_mul_f32_e32 v64, s64, v64                                // 00000000E3A0: 0A808040
	v_exp_f32_e32 v64, v64                                     // 00000000E3A4: 7E804140
	s_waitcnt lgkmcnt(0)                                       // 00000000E3A8: BF8CC07F
	s_barrier                                                  // 00000000E3AC: BF8A0000
	ds_read_b32 v80, v10 offset:20992                          // 00000000E3B0: D86C5200 5000000A
	ds_read_b32 v81, v10 offset:21056                          // 00000000E3B8: D86C5240 5100000A
	ds_read_b32 v82, v10 offset:21120                          // 00000000E3C0: D86C5280 5200000A
	ds_read_b32 v83, v10 offset:21184                          // 00000000E3C8: D86C52C0 5300000A
	ds_read_b32 v84, v10 offset:21248                          // 00000000E3D0: D86C5300 5400000A
	ds_read_b32 v85, v10 offset:21312                          // 00000000E3D8: D86C5340 5500000A
	ds_read_b32 v86, v10 offset:21376                          // 00000000E3E0: D86C5380 5600000A
	ds_read_b32 v87, v10 offset:21440                          // 00000000E3E8: D86C53C0 5700000A
	ds_read_b32 v88, v10 offset:21504                          // 00000000E3F0: D86C5400 5800000A
	ds_read_b32 v89, v10 offset:21568                          // 00000000E3F8: D86C5440 5900000A
	ds_read_b32 v90, v10 offset:21632                          // 00000000E400: D86C5480 5A00000A
	ds_read_b32 v91, v10 offset:21696                          // 00000000E408: D86C54C0 5B00000A
	ds_read_b32 v92, v10 offset:21760                          // 00000000E410: D86C5500 5C00000A
	ds_read_b32 v93, v10 offset:21824                          // 00000000E418: D86C5540 5D00000A
	ds_read_b32 v94, v10 offset:21888                          // 00000000E420: D86C5580 5E00000A
	ds_read_b32 v95, v10 offset:21952                          // 00000000E428: D86C55C0 5F00000A
	v_mul_f32_e32 v48, v64, v48                                // 00000000E430: 0A606140
	v_mov_b32_e32 v18, v144                                    // 00000000E434: 7E240390
	v_add_f32_e32 v18, v145, v18                               // 00000000E438: 02242591
	v_add_f32_e32 v18, v146, v18                               // 00000000E43C: 02242592
	v_add_f32_e32 v18, v147, v18                               // 00000000E440: 02242593
	v_add_f32_e32 v18, v148, v18                               // 00000000E444: 02242594
	v_add_f32_e32 v18, v149, v18                               // 00000000E448: 02242595
	v_add_f32_e32 v18, v150, v18                               // 00000000E44C: 02242596
	v_add_f32_e32 v18, v151, v18                               // 00000000E450: 02242597
	v_add_f32_e32 v18, v152, v18                               // 00000000E454: 02242598
	v_add_f32_e32 v18, v153, v18                               // 00000000E458: 02242599
	v_add_f32_e32 v18, v154, v18                               // 00000000E45C: 0224259A
	v_add_f32_e32 v18, v155, v18                               // 00000000E460: 0224259B
	v_add_f32_e32 v18, v156, v18                               // 00000000E464: 0224259C
	v_add_f32_e32 v18, v157, v18                               // 00000000E468: 0224259D
	v_add_f32_e32 v18, v158, v18                               // 00000000E46C: 0224259E
	v_add_f32_e32 v18, v159, v18                               // 00000000E470: 0224259F
	v_add_f32_e32 v48, v18, v48                                // 00000000E474: 02606112
	s_waitcnt lgkmcnt(0)                                       // 00000000E478: BF8CC07F
	v_max3_f32 v62, |v80|, |v81|, v62                          // 00000000E47C: D1D3033E 04FAA350
	v_max3_f32 v62, |v82|, |v83|, v62                          // 00000000E484: D1D3033E 04FAA752
	v_max3_f32 v62, |v84|, |v85|, v62                          // 00000000E48C: D1D3033E 04FAAB54
	v_max3_f32 v62, |v86|, |v87|, v62                          // 00000000E494: D1D3033E 04FAAF56
	v_max3_f32 v62, |v88|, |v89|, v62                          // 00000000E49C: D1D3033E 04FAB358
	v_max3_f32 v62, |v90|, |v91|, v62                          // 00000000E4A4: D1D3033E 04FAB75A
	v_max3_f32 v62, |v92|, |v93|, v62                          // 00000000E4AC: D1D3033E 04FABB5C
	v_max3_f32 v62, |v94|, |v95|, v62                          // 00000000E4B4: D1D3033E 04FABF5E
	s_nop 2                                                    // 00000000E4BC: BF800002
	v_rcp_f32_e32 v62, v62                                     // 00000000E4C0: 7E7C453E
	s_nop 1                                                    // 00000000E4C4: BF800001
	v_mul_f32_e32 v62, 0x43700000, v62                         // 00000000E4C8: 0A7C7CFF 43700000
	v_mul_f32_e32 v144, v62, v240                              // 00000000E4D0: 0B21E13E
	v_mul_f32_e32 v145, v62, v241                              // 00000000E4D4: 0B23E33E
	v_mul_f32_e32 v146, v62, v242                              // 00000000E4D8: 0B25E53E
	v_mul_f32_e32 v147, v62, v243                              // 00000000E4DC: 0B27E73E
	v_mul_f32_e32 v148, v62, v244                              // 00000000E4E0: 0B29E93E
	v_mul_f32_e32 v149, v62, v245                              // 00000000E4E4: 0B2BEB3E
	v_mul_f32_e32 v150, v62, v246                              // 00000000E4E8: 0B2DED3E
	v_mul_f32_e32 v151, v62, v247                              // 00000000E4EC: 0B2FEF3E
	v_mul_f32_e32 v152, v62, v248                              // 00000000E4F0: 0B31F13E
	v_mul_f32_e32 v153, v62, v249                              // 00000000E4F4: 0B33F33E
	v_mul_f32_e32 v154, v62, v250                              // 00000000E4F8: 0B35F53E
	v_mul_f32_e32 v155, v62, v251                              // 00000000E4FC: 0B37F73E
	v_mul_f32_e32 v156, v62, v252                              // 00000000E500: 0B39F93E
	v_mul_f32_e32 v157, v62, v253                              // 00000000E504: 0B3BFB3E
	v_mul_f32_e32 v158, v62, v254                              // 00000000E508: 0B3DFD3E
	v_mul_f32_e32 v159, v62, v255                              // 00000000E50C: 0B3FFF3E
	v_cvt_pk_fp8_f32 v144, v144, v145                          // 00000000E510: D2A20090 00032390
	v_cvt_pk_fp8_f32 v144, v146, v147 op_sel:[0,0,1]           // 00000000E518: D2A24090 00032792
	v_cvt_pk_fp8_f32 v145, v148, v149                          // 00000000E520: D2A20091 00032B94
	v_cvt_pk_fp8_f32 v145, v150, v151 op_sel:[0,0,1]           // 00000000E528: D2A24091 00032F96
	v_cvt_pk_fp8_f32 v146, v152, v153                          // 00000000E530: D2A20092 00033398
	v_cvt_pk_fp8_f32 v146, v154, v155 op_sel:[0,0,1]           // 00000000E538: D2A24092 0003379A
	v_cvt_pk_fp8_f32 v147, v156, v157                          // 00000000E540: D2A20093 00033B9C
	v_cvt_pk_fp8_f32 v147, v158, v159 op_sel:[0,0,1]           // 00000000E548: D2A24093 00033F9E
	ds_write_b32 v13, v144 offset:29184                        // 00000000E550: D81A7200 0000900D
	ds_write_b32 v13, v145 offset:30208                        // 00000000E558: D81A7600 0000910D
	ds_write_b32 v13, v146 offset:31232                        // 00000000E560: D81A7A00 0000920D
	ds_write_b32 v13, v147 offset:32256                        // 00000000E568: D81A7E00 0000930D
	v_add_f32_e32 v232, v232, v200                             // 00000000E570: 03D191E8
	v_add_f32_e32 v233, v233, v201                             // 00000000E574: 03D393E9
	v_add_f32_e32 v234, v234, v202                             // 00000000E578: 03D595EA
	v_add_f32_e32 v235, v235, v203                             // 00000000E57C: 03D797EB
	v_add_f32_e32 v236, v236, v204                             // 00000000E580: 03D999EC
	v_add_f32_e32 v237, v237, v205                             // 00000000E584: 03DB9BED
	v_add_f32_e32 v238, v238, v206                             // 00000000E588: 03DD9DEE
	v_add_f32_e32 v239, v239, v207                             // 00000000E58C: 03DF9FEF
	v_rcp_f32_e32 v59, v62                                     // 00000000E590: 7E76453E
	s_waitcnt lgkmcnt(0)                                       // 00000000E594: BF8CC07F
	s_barrier                                                  // 00000000E598: BF8A0000
	ds_read_b64 v[144:145], v12 offset:29184                   // 00000000E59C: D8EC7200 9000000C
	ds_read_b64 v[146:147], v12 offset:29312                   // 00000000E5A4: D8EC7280 9200000C
	ds_read_b64 v[148:149], v12 offset:30208                   // 00000000E5AC: D8EC7600 9400000C
	ds_read_b64 v[150:151], v12 offset:30336                   // 00000000E5B4: D8EC7680 9600000C
	ds_read_b64 v[152:153], v12 offset:31232                   // 00000000E5BC: D8EC7A00 9800000C
	ds_read_b64 v[154:155], v12 offset:31360                   // 00000000E5C4: D8EC7A80 9A00000C
	ds_read_b64 v[156:157], v12 offset:32256                   // 00000000E5CC: D8EC7E00 9C00000C
	ds_read_b64 v[158:159], v12 offset:32384                   // 00000000E5D4: D8EC7E80 9E00000C
	s_waitcnt vmcnt(15)                                        // 00000000E5DC: BF8C0F7F
	v_mfma_f32_16x16x32_fp8_fp8 v[192:195], a[96:97], v[128:129], 0// 00000000E5E0: D3F300C0 0A030160
	buffer_load_dwordx4 a[80:83], v33, s[20:23], 0 offen offset:1024// 00000000E5E8: E05C1400 80855021
	v_mfma_f32_16x16x32_fp8_fp8 v[192:195], a[98:99], v[130:131], v[192:195]// 00000000E5F0: D3F300C0 0F030562
	v_mfma_f32_16x16x32_fp8_fp8 v[192:195], a[100:101], v[132:133], v[192:195]// 00000000E5F8: D3F300C0 0F030964
	v_mfma_f32_16x16x32_fp8_fp8 v[192:195], a[102:103], v[134:135], v[192:195]// 00000000E600: D3F300C0 0F030D66
	v_mfma_f32_16x16x32_fp8_fp8 v[192:195], a[104:105], v[136:137], v[192:195]// 00000000E608: D3F300C0 0F031168
	buffer_load_dwordx4 a[84:87], v34, s[20:23], 0 offen offset:1024// 00000000E610: E05C1400 80855422
	v_mfma_f32_16x16x32_fp8_fp8 v[192:195], a[106:107], v[138:139], v[192:195]// 00000000E618: D3F300C0 0F03156A
	v_mfma_f32_16x16x32_fp8_fp8 v[192:195], a[108:109], v[140:141], v[192:195]// 00000000E620: D3F300C0 0F03196C
	v_mfma_f32_16x16x32_fp8_fp8 v[192:195], a[110:111], v[142:143], v[192:195]// 00000000E628: D3F300C0 0F031D6E
	v_mfma_f32_16x16x32_fp8_fp8 v[196:199], a[112:113], v[128:129], 0// 00000000E630: D3F300C4 0A030170
	buffer_load_dwordx4 a[88:91], v35, s[20:23], 0 offen offset:1024// 00000000E638: E05C1400 80855823
	v_mfma_f32_16x16x32_fp8_fp8 v[196:199], a[114:115], v[130:131], v[196:199]// 00000000E640: D3F300C4 0F130572
	v_mfma_f32_16x16x32_fp8_fp8 v[196:199], a[116:117], v[132:133], v[196:199]// 00000000E648: D3F300C4 0F130974
	v_mfma_f32_16x16x32_fp8_fp8 v[196:199], a[118:119], v[134:135], v[196:199]// 00000000E650: D3F300C4 0F130D76
	v_mfma_f32_16x16x32_fp8_fp8 v[196:199], a[120:121], v[136:137], v[196:199]// 00000000E658: D3F300C4 0F131178
	buffer_load_dwordx4 a[92:95], v36, s[20:23], 0 offen offset:1024// 00000000E660: E05C1400 80855C24
	v_mfma_f32_16x16x32_fp8_fp8 v[196:199], a[122:123], v[138:139], v[196:199]// 00000000E668: D3F300C4 0F13157A
	v_mfma_f32_16x16x32_fp8_fp8 v[196:199], a[124:125], v[140:141], v[196:199]// 00000000E670: D3F300C4 0F13197C
	s_lshr_b32 s57, s70, 4                                     // 00000000E678: 8F398446
	s_add_u32 s57, 48, s57                                     // 00000000E67C: 803939B0
	v_mfma_f32_16x16x32_fp8_fp8 v[196:199], a[126:127], v[142:143], v[196:199]// 00000000E680: D3F300C4 0F131D7E
	s_cmp_ge_u32 s57, s73                                      // 00000000E688: BF094939
	s_cselect_b32 s56, 0, s56                                  // 00000000E68C: 85383880
	v_mfma_f32_16x16x32_fp8_fp8 v[200:203], a[96:97], v[144:145], 0// 00000000E690: D3F300C8 0A032160
	v_mfma_f32_16x16x32_fp8_fp8 v[200:203], a[98:99], v[146:147], v[200:203]// 00000000E698: D3F300C8 0F232562
	v_mfma_f32_16x16x32_fp8_fp8 v[200:203], a[100:101], v[148:149], v[200:203]// 00000000E6A0: D3F300C8 0F232964
	v_mfma_f32_16x16x32_fp8_fp8 v[200:203], a[102:103], v[150:151], v[200:203]// 00000000E6A8: D3F300C8 0F232D66
	v_mfma_f32_16x16x32_fp8_fp8 v[200:203], a[104:105], v[152:153], v[200:203]// 00000000E6B0: D3F300C8 0F233168
	v_mfma_f32_16x16x32_fp8_fp8 v[200:203], a[106:107], v[154:155], v[200:203]// 00000000E6B8: D3F300C8 0F23356A
	v_mfma_f32_16x16x32_fp8_fp8 v[200:203], a[108:109], v[156:157], v[200:203]// 00000000E6C0: D3F300C8 0F23396C
	v_mfma_f32_16x16x32_fp8_fp8 v[200:203], a[110:111], v[158:159], v[200:203]// 00000000E6C8: D3F300C8 0F233D6E
	v_mfma_f32_16x16x32_fp8_fp8 v[204:207], a[112:113], v[144:145], 0// 00000000E6D0: D3F300CC 0A032170
	v_mfma_f32_16x16x32_fp8_fp8 v[204:207], a[114:115], v[146:147], v[204:207]// 00000000E6D8: D3F300CC 0F332572
	v_mfma_f32_16x16x32_fp8_fp8 v[204:207], a[116:117], v[148:149], v[204:207]// 00000000E6E0: D3F300CC 0F332974
	v_mfma_f32_16x16x32_fp8_fp8 v[204:207], a[118:119], v[150:151], v[204:207]// 00000000E6E8: D3F300CC 0F332D76
	v_mfma_f32_16x16x32_fp8_fp8 v[204:207], a[120:121], v[152:153], v[204:207]// 00000000E6F0: D3F300CC 0F333178
	v_mfma_f32_16x16x32_fp8_fp8 v[204:207], a[122:123], v[154:155], v[204:207]// 00000000E6F8: D3F300CC 0F33357A
	v_mfma_f32_16x16x32_fp8_fp8 v[204:207], a[124:125], v[156:157], v[204:207]// 00000000E700: D3F300CC 0F33397C
	v_mfma_f32_16x16x32_fp8_fp8 v[204:207], a[126:127], v[158:159], v[204:207]// 00000000E708: D3F300CC 0F333D7E
	v_add_u32_e32 v1, s56, v1                                  // 00000000E710: 68020238
	s_addk_i32 s70, 0x100                                      // 00000000E714: B7460100
	s_cmp_lt_i32 s70, s71                                      // 00000000E718: BF044746
	s_cbranch_scc0 label_28C9                                  // 00000000E71C: BF84F781
	s_branch label_28CC                                        // 00000000E720: BF82F783

000000000000e724 <label_3149>:
	s_lshr_b32 s60, s71, 4                                     // 00000000E724: 8F3C8447
	s_cmp_eq_i32 s60, s73                                      // 00000000E728: BF00493C
	s_cbranch_scc1 label_3B04                                  // 00000000E72C: BF8509B8
	s_lshr_b32 s60, s71, 8                                     // 00000000E730: 8F3C8847
	s_and_b32 s60, s60, 1                                      // 00000000E734: 863C813C
	s_cmp_eq_i32 s60, 1                                        // 00000000E738: BF00813C
	s_cbranch_scc1 label_362A                                  // 00000000E73C: BF8504DA
	s_waitcnt vmcnt(8) lgkmcnt(0)                              // 00000000E740: BF8C0078
	s_barrier                                                  // 00000000E744: BF8A0000
	v_mfma_f32_16x16x32_fp8_fp8 v[128:131], a[0:1], v[96:97], 0// 00000000E748: D3F30080 0A02C100
	v_mfma_f32_16x16x32_fp8_fp8 v[128:131], a[2:3], v[98:99], v[128:131]// 00000000E750: D3F30080 0E02C502
	v_mfma_f32_16x16x32_fp8_fp8 v[128:131], a[4:5], v[100:101], v[128:131]// 00000000E758: D3F30080 0E02C904
	v_mfma_f32_16x16x32_fp8_fp8 v[128:131], a[6:7], v[102:103], v[128:131]// 00000000E760: D3F30080 0E02CD06
	v_mfma_f32_16x16x32_fp8_fp8 v[132:135], a[8:9], v[96:97], 0// 00000000E768: D3F30084 0A02C108
	v_mfma_f32_16x16x32_fp8_fp8 v[132:135], a[10:11], v[98:99], v[132:135]// 00000000E770: D3F30084 0E12C50A
	v_mfma_f32_16x16x32_fp8_fp8 v[132:135], a[12:13], v[100:101], v[132:135]// 00000000E778: D3F30084 0E12C90C
	v_mfma_f32_16x16x32_fp8_fp8 v[132:135], a[14:15], v[102:103], v[132:135]// 00000000E780: D3F30084 0E12CD0E
	v_mfma_f32_16x16x32_fp8_fp8 v[136:139], a[16:17], v[96:97], 0// 00000000E788: D3F30088 0A02C110
	v_mfma_f32_16x16x32_fp8_fp8 v[136:139], a[18:19], v[98:99], v[136:139]// 00000000E790: D3F30088 0E22C512
	v_mfma_f32_16x16x32_fp8_fp8 v[136:139], a[20:21], v[100:101], v[136:139]// 00000000E798: D3F30088 0E22C914
	v_mfma_f32_16x16x32_fp8_fp8 v[136:139], a[22:23], v[102:103], v[136:139]// 00000000E7A0: D3F30088 0E22CD16
	v_mfma_f32_16x16x32_fp8_fp8 v[140:143], a[24:25], v[96:97], 0// 00000000E7A8: D3F3008C 0A02C118
	v_mfma_f32_16x16x32_fp8_fp8 v[140:143], a[26:27], v[98:99], v[140:143]// 00000000E7B0: D3F3008C 0E32C51A
	v_mfma_f32_16x16x32_fp8_fp8 v[140:143], a[28:29], v[100:101], v[140:143]// 00000000E7B8: D3F3008C 0E32C91C
	v_mfma_f32_16x16x32_fp8_fp8 v[140:143], a[30:31], v[102:103], v[140:143]// 00000000E7C0: D3F3008C 0E32CD1E
	v_mfma_f32_16x16x32_fp8_fp8 v[144:147], a[0:1], v[104:105], 0// 00000000E7C8: D3F30090 0A02D100
	v_mfma_f32_16x16x32_fp8_fp8 v[144:147], a[2:3], v[106:107], v[144:147]// 00000000E7D0: D3F30090 0E42D502
	v_mfma_f32_16x16x32_fp8_fp8 v[144:147], a[4:5], v[108:109], v[144:147]// 00000000E7D8: D3F30090 0E42D904
	v_mfma_f32_16x16x32_fp8_fp8 v[144:147], a[6:7], v[110:111], v[144:147]// 00000000E7E0: D3F30090 0E42DD06
	v_mfma_f32_16x16x32_fp8_fp8 v[148:151], a[8:9], v[104:105], 0// 00000000E7E8: D3F30094 0A02D108
	v_mfma_f32_16x16x32_fp8_fp8 v[148:151], a[10:11], v[106:107], v[148:151]// 00000000E7F0: D3F30094 0E52D50A
	v_mfma_f32_16x16x32_fp8_fp8 v[148:151], a[12:13], v[108:109], v[148:151]// 00000000E7F8: D3F30094 0E52D90C
	v_mfma_f32_16x16x32_fp8_fp8 v[148:151], a[14:15], v[110:111], v[148:151]// 00000000E800: D3F30094 0E52DD0E
	v_mfma_f32_16x16x32_fp8_fp8 v[152:155], a[16:17], v[104:105], 0// 00000000E808: D3F30098 0A02D110
	v_mfma_f32_16x16x32_fp8_fp8 v[152:155], a[18:19], v[106:107], v[152:155]// 00000000E810: D3F30098 0E62D512
	v_mfma_f32_16x16x32_fp8_fp8 v[152:155], a[20:21], v[108:109], v[152:155]// 00000000E818: D3F30098 0E62D914
	v_mfma_f32_16x16x32_fp8_fp8 v[152:155], a[22:23], v[110:111], v[152:155]// 00000000E820: D3F30098 0E62DD16
	v_mfma_f32_16x16x32_fp8_fp8 v[156:159], a[24:25], v[104:105], 0// 00000000E828: D3F3009C 0A02D118
	v_mfma_f32_16x16x32_fp8_fp8 v[156:159], a[26:27], v[106:107], v[156:159]// 00000000E830: D3F3009C 0E72D51A
	v_mfma_f32_16x16x32_fp8_fp8 v[156:159], a[28:29], v[108:109], v[156:159]// 00000000E838: D3F3009C 0E72D91C
	v_mfma_f32_16x16x32_fp8_fp8 v[156:159], a[30:31], v[110:111], v[156:159]// 00000000E840: D3F3009C 0E72DD1E
	v_mov_b32_dpp v41, v52 row_shr:4 row_mask:0xf bank_mask:0xf// 00000000E848: 7E5202FA FF011434
	v_mov_b32_dpp v42, v52 row_shl:4 row_mask:0xf bank_mask:0xf// 00000000E850: 7E5402FA FF010434
	v_cndmask_b32_e64 v248, v52, v41, s[44:45]                 // 00000000E858: D10000F8 00B25334
	v_cndmask_b32_e64 v249, v42, v52, s[44:45]                 // 00000000E860: D10000F9 00B2692A
	v_mov_b32_dpp v41, v248 row_shr:8 row_mask:0xf bank_mask:0xf// 00000000E868: 7E5202FA FF0118F8
	v_mov_b32_dpp v42, v248 row_shl:8 row_mask:0xf bank_mask:0xf// 00000000E870: 7E5402FA FF0108F8
	v_mov_b32_dpp v43, v249 row_shr:8 row_mask:0xf bank_mask:0xf// 00000000E878: 7E5602FA FF0118F9
	v_mov_b32_dpp v44, v249 row_shl:8 row_mask:0xf bank_mask:0xf// 00000000E880: 7E5802FA FF0108F9
	v_mov_b32_e32 v45, v248                                    // 00000000E888: 7E5A03F8
	v_mov_b32_e32 v46, v249                                    // 00000000E88C: 7E5C03F9
	v_cndmask_b32_e64 v248, v45, v41, s[42:43]                 // 00000000E890: D10000F8 00AA532D
	v_cndmask_b32_e64 v250, v45, v42, s[78:79]                 // 00000000E898: D10000FA 013A552D
	v_cndmask_b32_e64 v249, v46, v43, s[42:43]                 // 00000000E8A0: D10000F9 00AA572E
	v_cndmask_b32_e64 v251, v46, v44, s[78:79]                 // 00000000E8A8: D10000FB 013A592E
	v_mov_b32_dpp v41, v72 row_shr:4 row_mask:0xf bank_mask:0xf// 00000000E8B0: 7E5202FA FF011448
	v_mov_b32_dpp v42, v72 row_shl:4 row_mask:0xf bank_mask:0xf// 00000000E8B8: 7E5402FA FF010448
	v_cndmask_b32_e64 v252, v72, v41, s[44:45]                 // 00000000E8C0: D10000FC 00B25348
	v_cndmask_b32_e64 v253, v42, v72, s[44:45]                 // 00000000E8C8: D10000FD 00B2912A
	v_mov_b32_dpp v41, v252 row_shr:8 row_mask:0xf bank_mask:0xf// 00000000E8D0: 7E5202FA FF0118FC
	v_mov_b32_dpp v42, v252 row_shl:8 row_mask:0xf bank_mask:0xf// 00000000E8D8: 7E5402FA FF0108FC
	v_mov_b32_dpp v43, v253 row_shr:8 row_mask:0xf bank_mask:0xf// 00000000E8E0: 7E5602FA FF0118FD
	v_mov_b32_dpp v44, v253 row_shl:8 row_mask:0xf bank_mask:0xf// 00000000E8E8: 7E5802FA FF0108FD
	v_mov_b32_e32 v45, v252                                    // 00000000E8F0: 7E5A03FC
	v_mov_b32_e32 v46, v253                                    // 00000000E8F4: 7E5C03FD
	v_cndmask_b32_e64 v252, v45, v41, s[42:43]                 // 00000000E8F8: D10000FC 00AA532D
	v_cndmask_b32_e64 v254, v45, v42, s[78:79]                 // 00000000E900: D10000FE 013A552D
	v_cndmask_b32_e64 v253, v46, v43, s[42:43]                 // 00000000E908: D10000FD 00AA572E
	v_cndmask_b32_e64 v255, v46, v44, s[78:79]                 // 00000000E910: D10000FF 013A592E
	v_mul_f32_e32 v128, v54, v128                              // 00000000E918: 0B010136
	v_mul_f32_e32 v129, v54, v129                              // 00000000E91C: 0B030336
	v_mul_f32_e32 v130, v54, v130                              // 00000000E920: 0B050536
	v_mul_f32_e32 v131, v54, v131                              // 00000000E924: 0B070736
	v_mul_f32_e32 v132, v54, v132                              // 00000000E928: 0B090936
	v_mul_f32_e32 v133, v54, v133                              // 00000000E92C: 0B0B0B36
	v_mul_f32_e32 v134, v54, v134                              // 00000000E930: 0B0D0D36
	v_mul_f32_e32 v135, v54, v135                              // 00000000E934: 0B0F0F36
	v_mul_f32_e32 v136, v54, v136                              // 00000000E938: 0B111136
	v_mul_f32_e32 v137, v54, v137                              // 00000000E93C: 0B131336
	v_mul_f32_e32 v138, v54, v138                              // 00000000E940: 0B151536
	v_mul_f32_e32 v139, v54, v139                              // 00000000E944: 0B171736
	v_mul_f32_e32 v140, v54, v140                              // 00000000E948: 0B191936
	v_mul_f32_e32 v141, v54, v141                              // 00000000E94C: 0B1B1B36
	v_mul_f32_e32 v142, v54, v142                              // 00000000E950: 0B1D1D36
	v_mul_f32_e32 v143, v54, v143                              // 00000000E954: 0B1F1F36
	v_mul_f32_dpp v128, v248, v128 quad_perm:[0,0,0,0] row_mask:0xf bank_mask:0xf// 00000000E958: 0B0100FA FF0000F8
	v_mul_f32_dpp v129, v248, v129 quad_perm:[1,1,1,1] row_mask:0xf bank_mask:0xf// 00000000E960: 0B0302FA FF0055F8
	v_mul_f32_dpp v130, v248, v130 quad_perm:[2,2,2,2] row_mask:0xf bank_mask:0xf// 00000000E968: 0B0504FA FF00AAF8
	v_mul_f32_dpp v131, v248, v131 quad_perm:[3,3,3,3] row_mask:0xf bank_mask:0xf// 00000000E970: 0B0706FA FF00FFF8
	v_mul_f32_dpp v132, v249, v132 quad_perm:[0,0,0,0] row_mask:0xf bank_mask:0xf// 00000000E978: 0B0908FA FF0000F9
	v_mul_f32_dpp v133, v249, v133 quad_perm:[1,1,1,1] row_mask:0xf bank_mask:0xf// 00000000E980: 0B0B0AFA FF0055F9
	v_mul_f32_dpp v134, v249, v134 quad_perm:[2,2,2,2] row_mask:0xf bank_mask:0xf// 00000000E988: 0B0D0CFA FF00AAF9
	v_mul_f32_dpp v135, v249, v135 quad_perm:[3,3,3,3] row_mask:0xf bank_mask:0xf// 00000000E990: 0B0F0EFA FF00FFF9
	v_mul_f32_dpp v136, v250, v136 quad_perm:[0,0,0,0] row_mask:0xf bank_mask:0xf// 00000000E998: 0B1110FA FF0000FA
	v_mul_f32_dpp v137, v250, v137 quad_perm:[1,1,1,1] row_mask:0xf bank_mask:0xf// 00000000E9A0: 0B1312FA FF0055FA
	v_mul_f32_dpp v138, v250, v138 quad_perm:[2,2,2,2] row_mask:0xf bank_mask:0xf// 00000000E9A8: 0B1514FA FF00AAFA
	v_mul_f32_dpp v139, v250, v139 quad_perm:[3,3,3,3] row_mask:0xf bank_mask:0xf// 00000000E9B0: 0B1716FA FF00FFFA
	v_mul_f32_dpp v140, v251, v140 quad_perm:[0,0,0,0] row_mask:0xf bank_mask:0xf// 00000000E9B8: 0B1918FA FF0000FB
	v_mul_f32_dpp v141, v251, v141 quad_perm:[1,1,1,1] row_mask:0xf bank_mask:0xf// 00000000E9C0: 0B1B1AFA FF0055FB
	v_mul_f32_dpp v142, v251, v142 quad_perm:[2,2,2,2] row_mask:0xf bank_mask:0xf// 00000000E9C8: 0B1D1CFA FF00AAFB
	v_mul_f32_dpp v143, v251, v143 quad_perm:[3,3,3,3] row_mask:0xf bank_mask:0xf// 00000000E9D0: 0B1F1EFA FF00FFFB
	s_and_b32 s60, s72, 0xff                                   // 00000000E9D8: 863CFF48 000000FF
	v_mov_b32_e32 v42, s60                                     // 00000000E9E0: 7E54023C
	v_lshrrev_b32_e32 v240, 4, v0                              // 00000000E9E4: 21E00084
	v_mul_i32_i24_e32 v240, 4, v240                            // 00000000E9E8: 0DE1E084
	s_mul_i32 s60, s7, 16                                      // 00000000E9EC: 923C9007
	v_add_u32_e32 v240, s60, v240                              // 00000000E9F0: 69E1E03C
	v_add_u32_e32 v241, 1, v240                                // 00000000E9F4: 69E3E081
	v_add_u32_e32 v242, 2, v240                                // 00000000E9F8: 69E5E082
	v_add_u32_e32 v243, 3, v240                                // 00000000E9FC: 69E7E083
	v_mov_b32_e32 v41, 0xff800000                              // 00000000EA00: 7E5202FF FF800000
	v_cmp_lt_u32_e64 s[40:41], v240, v42                       // 00000000EA08: D0C90028 000255F0
	v_add_u32_e32 v240, 64, v240                               // 00000000EA10: 69E1E0C0
	s_nop 0                                                    // 00000000EA14: BF800000
	v_cndmask_b32_e64 v128, v41, v128, s[40:41]                // 00000000EA18: D1000080 00A30129
	v_cmp_lt_u32_e64 s[40:41], v241, v42                       // 00000000EA20: D0C90028 000255F1
	v_add_u32_e32 v241, 64, v241                               // 00000000EA28: 69E3E2C0
	s_nop 0                                                    // 00000000EA2C: BF800000
	v_cndmask_b32_e64 v129, v41, v129, s[40:41]                // 00000000EA30: D1000081 00A30329
	v_cmp_lt_u32_e64 s[40:41], v242, v42                       // 00000000EA38: D0C90028 000255F2
	v_add_u32_e32 v242, 64, v242                               // 00000000EA40: 69E5E4C0
	s_nop 0                                                    // 00000000EA44: BF800000
	v_cndmask_b32_e64 v130, v41, v130, s[40:41]                // 00000000EA48: D1000082 00A30529
	v_cmp_lt_u32_e64 s[40:41], v243, v42                       // 00000000EA50: D0C90028 000255F3
	v_add_u32_e32 v243, 64, v243                               // 00000000EA58: 69E7E6C0
	s_nop 0                                                    // 00000000EA5C: BF800000
	v_cndmask_b32_e64 v131, v41, v131, s[40:41]                // 00000000EA60: D1000083 00A30729
	v_cmp_lt_u32_e64 s[40:41], v240, v42                       // 00000000EA68: D0C90028 000255F0
	v_add_u32_e32 v240, 64, v240                               // 00000000EA70: 69E1E0C0
	s_nop 0                                                    // 00000000EA74: BF800000
	v_cndmask_b32_e64 v132, v41, v132, s[40:41]                // 00000000EA78: D1000084 00A30929
	v_cmp_lt_u32_e64 s[40:41], v241, v42                       // 00000000EA80: D0C90028 000255F1
	v_add_u32_e32 v241, 64, v241                               // 00000000EA88: 69E3E2C0
	s_nop 0                                                    // 00000000EA8C: BF800000
	v_cndmask_b32_e64 v133, v41, v133, s[40:41]                // 00000000EA90: D1000085 00A30B29
	v_cmp_lt_u32_e64 s[40:41], v242, v42                       // 00000000EA98: D0C90028 000255F2
	v_add_u32_e32 v242, 64, v242                               // 00000000EAA0: 69E5E4C0
	s_nop 0                                                    // 00000000EAA4: BF800000
	v_cndmask_b32_e64 v134, v41, v134, s[40:41]                // 00000000EAA8: D1000086 00A30D29
	v_cmp_lt_u32_e64 s[40:41], v243, v42                       // 00000000EAB0: D0C90028 000255F3
	v_add_u32_e32 v243, 64, v243                               // 00000000EAB8: 69E7E6C0
	s_nop 0                                                    // 00000000EABC: BF800000
	v_cndmask_b32_e64 v135, v41, v135, s[40:41]                // 00000000EAC0: D1000087 00A30F29
	v_cmp_lt_u32_e64 s[40:41], v240, v42                       // 00000000EAC8: D0C90028 000255F0
	v_add_u32_e32 v240, 64, v240                               // 00000000EAD0: 69E1E0C0
	s_nop 0                                                    // 00000000EAD4: BF800000
	v_cndmask_b32_e64 v136, v41, v136, s[40:41]                // 00000000EAD8: D1000088 00A31129
	v_cmp_lt_u32_e64 s[40:41], v241, v42                       // 00000000EAE0: D0C90028 000255F1
	v_add_u32_e32 v241, 64, v241                               // 00000000EAE8: 69E3E2C0
	s_nop 0                                                    // 00000000EAEC: BF800000
	v_cndmask_b32_e64 v137, v41, v137, s[40:41]                // 00000000EAF0: D1000089 00A31329
	v_cmp_lt_u32_e64 s[40:41], v242, v42                       // 00000000EAF8: D0C90028 000255F2
	v_add_u32_e32 v242, 64, v242                               // 00000000EB00: 69E5E4C0
	s_nop 0                                                    // 00000000EB04: BF800000
	v_cndmask_b32_e64 v138, v41, v138, s[40:41]                // 00000000EB08: D100008A 00A31529
	v_cmp_lt_u32_e64 s[40:41], v243, v42                       // 00000000EB10: D0C90028 000255F3
	v_add_u32_e32 v243, 64, v243                               // 00000000EB18: 69E7E6C0
	s_nop 0                                                    // 00000000EB1C: BF800000
	v_cndmask_b32_e64 v139, v41, v139, s[40:41]                // 00000000EB20: D100008B 00A31729
	v_cmp_lt_u32_e64 s[40:41], v240, v42                       // 00000000EB28: D0C90028 000255F0
	v_add_u32_e32 v240, 64, v240                               // 00000000EB30: 69E1E0C0
	s_nop 0                                                    // 00000000EB34: BF800000
	v_cndmask_b32_e64 v140, v41, v140, s[40:41]                // 00000000EB38: D100008C 00A31929
	v_cmp_lt_u32_e64 s[40:41], v241, v42                       // 00000000EB40: D0C90028 000255F1
	v_add_u32_e32 v241, 64, v241                               // 00000000EB48: 69E3E2C0
	s_nop 0                                                    // 00000000EB4C: BF800000
	v_cndmask_b32_e64 v141, v41, v141, s[40:41]                // 00000000EB50: D100008D 00A31B29
	v_cmp_lt_u32_e64 s[40:41], v242, v42                       // 00000000EB58: D0C90028 000255F2
	v_add_u32_e32 v242, 64, v242                               // 00000000EB60: 69E5E4C0
	s_nop 0                                                    // 00000000EB64: BF800000
	v_cndmask_b32_e64 v142, v41, v142, s[40:41]                // 00000000EB68: D100008E 00A31D29
	v_cmp_lt_u32_e64 s[40:41], v243, v42                       // 00000000EB70: D0C90028 000255F3
	v_add_u32_e32 v243, 64, v243                               // 00000000EB78: 69E7E6C0
	s_nop 0                                                    // 00000000EB7C: BF800000
	v_cndmask_b32_e64 v143, v41, v143, s[40:41]                // 00000000EB80: D100008F 00A31F29
	v_mov_b32_e32 v62, v128                                    // 00000000EB88: 7E7C0380
	v_max3_f32 v62, v128, v129, v62                            // 00000000EB8C: D1D3003E 04FB0380
	v_max3_f32 v62, v130, v131, v62                            // 00000000EB94: D1D3003E 04FB0782
	v_max3_f32 v62, v132, v133, v62                            // 00000000EB9C: D1D3003E 04FB0B84
	v_max3_f32 v62, v134, v135, v62                            // 00000000EBA4: D1D3003E 04FB0F86
	v_max3_f32 v62, v136, v137, v62                            // 00000000EBAC: D1D3003E 04FB1388
	v_max3_f32 v62, v138, v139, v62                            // 00000000EBB4: D1D3003E 04FB178A
	v_max3_f32 v62, v140, v141, v62                            // 00000000EBBC: D1D3003E 04FB1B8C
	v_max3_f32 v62, v142, v143, v62                            // 00000000EBC4: D1D3003E 04FB1F8E
	ds_write_b32 v11, v62 offset:16896                         // 00000000EBCC: D81A4200 00003E0B
	v_mul_u32_u24_dpp v41, v20, v68 row_newbcast:1 row_mask:0xf bank_mask:0xf// 00000000EBD4: 105288FA FF015114
	v_mul_u32_u24_dpp v42, v20, v68 row_newbcast:5 row_mask:0xf bank_mask:0xf// 00000000EBDC: 105488FA FF015514
	v_mul_u32_u24_dpp v43, v20, v68 row_newbcast:9 row_mask:0xf bank_mask:0xf// 00000000EBE4: 105688FA FF015914
	v_mul_u32_u24_dpp v44, v20, v68 row_newbcast:13 row_mask:0xf bank_mask:0xf// 00000000EBEC: 105888FA FF015D14
	v_add_u32_e32 v37, v41, v7                                 // 00000000EBF4: 684A0F29
	v_add_u32_e32 v38, v42, v7                                 // 00000000EBF8: 684C0F2A
	v_add_u32_e32 v39, v43, v7                                 // 00000000EBFC: 684E0F2B
	v_add_u32_e32 v40, v44, v7                                 // 00000000EC00: 68500F2C
	v_mul_f32_e32 v224, v63, v224                              // 00000000EC04: 0BC1C13F
	v_mul_f32_e32 v225, v63, v225                              // 00000000EC08: 0BC3C33F
	v_mul_f32_e32 v226, v63, v226                              // 00000000EC0C: 0BC5C53F
	v_mul_f32_e32 v227, v63, v227                              // 00000000EC10: 0BC7C73F
	v_mul_f32_e32 v228, v63, v228                              // 00000000EC14: 0BC9C93F
	v_mul_f32_e32 v229, v63, v229                              // 00000000EC18: 0BCBCB3F
	v_mul_f32_e32 v230, v63, v230                              // 00000000EC1C: 0BCDCD3F
	v_mul_f32_e32 v231, v63, v231                              // 00000000EC20: 0BCFCF3F
	s_waitcnt lgkmcnt(0)                                       // 00000000EC24: BF8CC07F
	s_barrier                                                  // 00000000EC28: BF8A0000
	ds_read_b32 v80, v10 offset:16896                          // 00000000EC2C: D86C4200 5000000A
	ds_read_b32 v81, v10 offset:16960                          // 00000000EC34: D86C4240 5100000A
	ds_read_b32 v82, v10 offset:17024                          // 00000000EC3C: D86C4280 5200000A
	ds_read_b32 v83, v10 offset:17088                          // 00000000EC44: D86C42C0 5300000A
	ds_read_b32 v84, v10 offset:17152                          // 00000000EC4C: D86C4300 5400000A
	ds_read_b32 v85, v10 offset:17216                          // 00000000EC54: D86C4340 5500000A
	ds_read_b32 v86, v10 offset:17280                          // 00000000EC5C: D86C4380 5600000A
	ds_read_b32 v87, v10 offset:17344                          // 00000000EC64: D86C43C0 5700000A
	ds_read_b32 v88, v10 offset:17408                          // 00000000EC6C: D86C4400 5800000A
	ds_read_b32 v89, v10 offset:17472                          // 00000000EC74: D86C4440 5900000A
	ds_read_b32 v90, v10 offset:17536                          // 00000000EC7C: D86C4480 5A00000A
	ds_read_b32 v91, v10 offset:17600                          // 00000000EC84: D86C44C0 5B00000A
	ds_read_b32 v92, v10 offset:17664                          // 00000000EC8C: D86C4500 5C00000A
	ds_read_b32 v93, v10 offset:17728                          // 00000000EC94: D86C4540 5D00000A
	ds_read_b32 v94, v10 offset:17792                          // 00000000EC9C: D86C4580 5E00000A
	ds_read_b32 v95, v10 offset:17856                          // 00000000ECA4: D86C45C0 5F00000A
	v_mul_f32_e32 v192, v58, v192                              // 00000000ECAC: 0B81813A
	v_mul_f32_e32 v193, v58, v193                              // 00000000ECB0: 0B83833A
	v_mul_f32_e32 v194, v58, v194                              // 00000000ECB4: 0B85853A
	v_mul_f32_e32 v195, v58, v195                              // 00000000ECB8: 0B87873A
	v_mul_f32_e32 v196, v58, v196                              // 00000000ECBC: 0B89893A
	v_mul_f32_e32 v197, v58, v197                              // 00000000ECC0: 0B8B8B3A
	v_mul_f32_e32 v198, v58, v198                              // 00000000ECC4: 0B8D8D3A
	v_mul_f32_e32 v199, v58, v199                              // 00000000ECC8: 0B8F8F3A
	s_waitcnt lgkmcnt(0)                                       // 00000000ECCC: BF8CC07F
	v_max3_f32 v62, v80, v81, v62                              // 00000000ECD0: D1D3003E 04FAA350
	v_max3_f32 v62, v82, v83, v62                              // 00000000ECD8: D1D3003E 04FAA752
	v_max3_f32 v62, v84, v85, v62                              // 00000000ECE0: D1D3003E 04FAAB54
	v_max3_f32 v62, v86, v87, v62                              // 00000000ECE8: D1D3003E 04FAAF56
	v_max3_f32 v62, v88, v89, v62                              // 00000000ECF0: D1D3003E 04FAB358
	v_max3_f32 v62, v90, v91, v62                              // 00000000ECF8: D1D3003E 04FAB75A
	v_max3_f32 v62, v92, v93, v62                              // 00000000ED00: D1D3003E 04FABB5C
	v_max3_f32 v62, v94, v95, v62                              // 00000000ED08: D1D3003E 04FABF5E
	v_mov_b32_e32 v41, 0xff800000                              // 00000000ED10: 7E5202FF FF800000
	v_cmp_eq_u32_e64 s[40:41], v41, v14                        // 00000000ED18: D0CA0028 00021D29
	s_nop 1                                                    // 00000000ED20: BF800001
	v_max_f32_e32 v18, v62, v14                                // 00000000ED24: 16241D3E
	v_mul_f32_e32 v67, s64, v18                                // 00000000ED28: 0A862440
	v_fma_f32 v128, v128, s64, -v67                            // 00000000ED2C: D1CB0080 850C8180
	v_fma_f32 v129, v129, s64, -v67                            // 00000000ED34: D1CB0081 850C8181
	v_fma_f32 v130, v130, s64, -v67                            // 00000000ED3C: D1CB0082 850C8182
	v_fma_f32 v131, v131, s64, -v67                            // 00000000ED44: D1CB0083 850C8183
	v_fma_f32 v132, v132, s64, -v67                            // 00000000ED4C: D1CB0084 850C8184
	v_fma_f32 v133, v133, s64, -v67                            // 00000000ED54: D1CB0085 850C8185
	v_fma_f32 v134, v134, s64, -v67                            // 00000000ED5C: D1CB0086 850C8186
	v_fma_f32 v135, v135, s64, -v67                            // 00000000ED64: D1CB0087 850C8187
	v_fma_f32 v136, v136, s64, -v67                            // 00000000ED6C: D1CB0088 850C8188
	v_fma_f32 v137, v137, s64, -v67                            // 00000000ED74: D1CB0089 850C8189
	v_fma_f32 v138, v138, s64, -v67                            // 00000000ED7C: D1CB008A 850C818A
	v_fma_f32 v139, v139, s64, -v67                            // 00000000ED84: D1CB008B 850C818B
	v_fma_f32 v140, v140, s64, -v67                            // 00000000ED8C: D1CB008C 850C818C
	v_fma_f32 v141, v141, s64, -v67                            // 00000000ED94: D1CB008D 850C818D
	v_fma_f32 v142, v142, s64, -v67                            // 00000000ED9C: D1CB008E 850C818E
	v_fma_f32 v143, v143, s64, -v67                            // 00000000EDA4: D1CB008F 850C818F
	v_exp_f32_e32 v128, v128                                   // 00000000EDAC: 7F004180
	v_exp_f32_e32 v129, v129                                   // 00000000EDB0: 7F024181
	v_exp_f32_e32 v130, v130                                   // 00000000EDB4: 7F044182
	v_exp_f32_e32 v131, v131                                   // 00000000EDB8: 7F064183
	v_exp_f32_e32 v132, v132                                   // 00000000EDBC: 7F084184
	v_exp_f32_e32 v133, v133                                   // 00000000EDC0: 7F0A4185
	v_exp_f32_e32 v134, v134                                   // 00000000EDC4: 7F0C4186
	v_exp_f32_e32 v135, v135                                   // 00000000EDC8: 7F0E4187
	v_exp_f32_e32 v136, v136                                   // 00000000EDCC: 7F104188
	v_exp_f32_e32 v137, v137                                   // 00000000EDD0: 7F124189
	v_exp_f32_e32 v138, v138                                   // 00000000EDD4: 7F14418A
	v_exp_f32_e32 v139, v139                                   // 00000000EDD8: 7F16418B
	v_exp_f32_e32 v140, v140                                   // 00000000EDDC: 7F18418C
	v_exp_f32_e32 v141, v141                                   // 00000000EDE0: 7F1A418D
	v_exp_f32_e32 v142, v142                                   // 00000000EDE4: 7F1C418E
	v_exp_f32_e32 v143, v143                                   // 00000000EDE8: 7F1E418F
	v_mul_f32_dpp v240, v252, v128 quad_perm:[0,0,0,0] row_mask:0xf bank_mask:0xf// 00000000EDEC: 0BE100FA FF0000FC
	v_mul_f32_dpp v241, v252, v129 quad_perm:[1,1,1,1] row_mask:0xf bank_mask:0xf// 00000000EDF4: 0BE302FA FF0055FC
	v_mul_f32_dpp v242, v252, v130 quad_perm:[2,2,2,2] row_mask:0xf bank_mask:0xf// 00000000EDFC: 0BE504FA FF00AAFC
	v_mul_f32_dpp v243, v252, v131 quad_perm:[3,3,3,3] row_mask:0xf bank_mask:0xf// 00000000EE04: 0BE706FA FF00FFFC
	v_mul_f32_dpp v244, v253, v132 quad_perm:[0,0,0,0] row_mask:0xf bank_mask:0xf// 00000000EE0C: 0BE908FA FF0000FD
	v_mul_f32_dpp v245, v253, v133 quad_perm:[1,1,1,1] row_mask:0xf bank_mask:0xf// 00000000EE14: 0BEB0AFA FF0055FD
	v_mul_f32_dpp v246, v253, v134 quad_perm:[2,2,2,2] row_mask:0xf bank_mask:0xf// 00000000EE1C: 0BED0CFA FF00AAFD
	v_mul_f32_dpp v247, v253, v135 quad_perm:[3,3,3,3] row_mask:0xf bank_mask:0xf// 00000000EE24: 0BEF0EFA FF00FFFD
	v_mul_f32_dpp v248, v254, v136 quad_perm:[0,0,0,0] row_mask:0xf bank_mask:0xf// 00000000EE2C: 0BF110FA FF0000FE
	v_mul_f32_dpp v249, v254, v137 quad_perm:[1,1,1,1] row_mask:0xf bank_mask:0xf// 00000000EE34: 0BF312FA FF0055FE
	v_mul_f32_dpp v250, v254, v138 quad_perm:[2,2,2,2] row_mask:0xf bank_mask:0xf// 00000000EE3C: 0BF514FA FF00AAFE
	v_mul_f32_dpp v251, v254, v139 quad_perm:[3,3,3,3] row_mask:0xf bank_mask:0xf// 00000000EE44: 0BF716FA FF00FFFE
	v_mul_f32_dpp v252, v255, v140 quad_perm:[0,0,0,0] row_mask:0xf bank_mask:0xf// 00000000EE4C: 0BF918FA FF0000FF
	v_mul_f32_dpp v253, v255, v141 quad_perm:[1,1,1,1] row_mask:0xf bank_mask:0xf// 00000000EE54: 0BFB1AFA FF0055FF
	v_mul_f32_dpp v254, v255, v142 quad_perm:[2,2,2,2] row_mask:0xf bank_mask:0xf// 00000000EE5C: 0BFD1CFA FF00AAFF
	v_mul_f32_dpp v255, v255, v143 quad_perm:[3,3,3,3] row_mask:0xf bank_mask:0xf// 00000000EE64: 0BFF1EFA FF00FFFF
	v_mov_b32_e32 v62, 0x358637bd                              // 00000000EE6C: 7E7C02FF 358637BD
	v_max3_f32 v62, |v240|, |v241|, v62                        // 00000000EE74: D1D3033E 04FBE3F0
	v_max3_f32 v62, |v242|, |v243|, v62                        // 00000000EE7C: D1D3033E 04FBE7F2
	v_max3_f32 v62, |v244|, |v245|, v62                        // 00000000EE84: D1D3033E 04FBEBF4
	v_max3_f32 v62, |v246|, |v247|, v62                        // 00000000EE8C: D1D3033E 04FBEFF6
	v_max3_f32 v62, |v248|, |v249|, v62                        // 00000000EE94: D1D3033E 04FBF3F8
	v_max3_f32 v62, |v250|, |v251|, v62                        // 00000000EE9C: D1D3033E 04FBF7FA
	v_max3_f32 v62, |v252|, |v253|, v62                        // 00000000EEA4: D1D3033E 04FBFBFC
	v_max3_f32 v62, |v254|, |v255|, v62                        // 00000000EEAC: D1D3033E 04FBFFFE
	ds_write_b32 v11, v62 offset:20992                         // 00000000EEB4: D81A5200 00003E0B
	v_sub_f32_e32 v63, v14, v18                                // 00000000EEBC: 047E250E
	v_cndmask_b32_e64 v63, v63, 0, s[40:41]                    // 00000000EEC0: D100003F 00A1013F
	v_mov_b32_e32 v14, v18                                     // 00000000EEC8: 7E1C0312
	v_mul_f32_e32 v63, s64, v63                                // 00000000EECC: 0A7E7E40
	v_exp_f32_e32 v63, v63                                     // 00000000EED0: 7E7E413F
	s_waitcnt lgkmcnt(0)                                       // 00000000EED4: BF8CC07F
	s_barrier                                                  // 00000000EED8: BF8A0000
	ds_read_b32 v80, v10 offset:20992                          // 00000000EEDC: D86C5200 5000000A
	ds_read_b32 v81, v10 offset:21056                          // 00000000EEE4: D86C5240 5100000A
	ds_read_b32 v82, v10 offset:21120                          // 00000000EEEC: D86C5280 5200000A
	ds_read_b32 v83, v10 offset:21184                          // 00000000EEF4: D86C52C0 5300000A
	ds_read_b32 v84, v10 offset:21248                          // 00000000EEFC: D86C5300 5400000A
	ds_read_b32 v85, v10 offset:21312                          // 00000000EF04: D86C5340 5500000A
	ds_read_b32 v86, v10 offset:21376                          // 00000000EF0C: D86C5380 5600000A
	ds_read_b32 v87, v10 offset:21440                          // 00000000EF14: D86C53C0 5700000A
	ds_read_b32 v88, v10 offset:21504                          // 00000000EF1C: D86C5400 5800000A
	ds_read_b32 v89, v10 offset:21568                          // 00000000EF24: D86C5440 5900000A
	ds_read_b32 v90, v10 offset:21632                          // 00000000EF2C: D86C5480 5A00000A
	ds_read_b32 v91, v10 offset:21696                          // 00000000EF34: D86C54C0 5B00000A
	ds_read_b32 v92, v10 offset:21760                          // 00000000EF3C: D86C5500 5C00000A
	ds_read_b32 v93, v10 offset:21824                          // 00000000EF44: D86C5540 5D00000A
	ds_read_b32 v94, v10 offset:21888                          // 00000000EF4C: D86C5580 5E00000A
	ds_read_b32 v95, v10 offset:21952                          // 00000000EF54: D86C55C0 5F00000A
	v_mul_f32_e32 v47, v63, v47                                // 00000000EF5C: 0A5E5F3F
	v_mov_b32_e32 v18, v128                                    // 00000000EF60: 7E240380
	v_add_f32_e32 v18, v129, v18                               // 00000000EF64: 02242581
	v_add_f32_e32 v18, v130, v18                               // 00000000EF68: 02242582
	v_add_f32_e32 v18, v131, v18                               // 00000000EF6C: 02242583
	v_add_f32_e32 v18, v132, v18                               // 00000000EF70: 02242584
	v_add_f32_e32 v18, v133, v18                               // 00000000EF74: 02242585
	v_add_f32_e32 v18, v134, v18                               // 00000000EF78: 02242586
	v_add_f32_e32 v18, v135, v18                               // 00000000EF7C: 02242587
	v_add_f32_e32 v18, v136, v18                               // 00000000EF80: 02242588
	v_add_f32_e32 v18, v137, v18                               // 00000000EF84: 02242589
	v_add_f32_e32 v18, v138, v18                               // 00000000EF88: 0224258A
	v_add_f32_e32 v18, v139, v18                               // 00000000EF8C: 0224258B
	v_add_f32_e32 v18, v140, v18                               // 00000000EF90: 0224258C
	v_add_f32_e32 v18, v141, v18                               // 00000000EF94: 0224258D
	v_add_f32_e32 v18, v142, v18                               // 00000000EF98: 0224258E
	v_add_f32_e32 v18, v143, v18                               // 00000000EF9C: 0224258F
	v_add_f32_e32 v47, v18, v47                                // 00000000EFA0: 025E5F12
	s_waitcnt lgkmcnt(0)                                       // 00000000EFA4: BF8CC07F
	v_max3_f32 v62, |v80|, |v81|, v62                          // 00000000EFA8: D1D3033E 04FAA350
	v_max3_f32 v62, |v82|, |v83|, v62                          // 00000000EFB0: D1D3033E 04FAA752
	v_max3_f32 v62, |v84|, |v85|, v62                          // 00000000EFB8: D1D3033E 04FAAB54
	v_max3_f32 v62, |v86|, |v87|, v62                          // 00000000EFC0: D1D3033E 04FAAF56
	v_max3_f32 v62, |v88|, |v89|, v62                          // 00000000EFC8: D1D3033E 04FAB358
	v_max3_f32 v62, |v90|, |v91|, v62                          // 00000000EFD0: D1D3033E 04FAB75A
	v_max3_f32 v62, |v92|, |v93|, v62                          // 00000000EFD8: D1D3033E 04FABB5C
	v_max3_f32 v62, |v94|, |v95|, v62                          // 00000000EFE0: D1D3033E 04FABF5E
	s_nop 2                                                    // 00000000EFE8: BF800002
	v_rcp_f32_e32 v62, v62                                     // 00000000EFEC: 7E7C453E
	s_nop 1                                                    // 00000000EFF0: BF800001
	v_mul_f32_e32 v62, 0x43700000, v62                         // 00000000EFF4: 0A7C7CFF 43700000
	v_mul_f32_e32 v128, v62, v240                              // 00000000EFFC: 0B01E13E
	v_mul_f32_e32 v129, v62, v241                              // 00000000F000: 0B03E33E
	v_mul_f32_e32 v130, v62, v242                              // 00000000F004: 0B05E53E
	v_mul_f32_e32 v131, v62, v243                              // 00000000F008: 0B07E73E
	v_mul_f32_e32 v132, v62, v244                              // 00000000F00C: 0B09E93E
	v_mul_f32_e32 v133, v62, v245                              // 00000000F010: 0B0BEB3E
	v_mul_f32_e32 v134, v62, v246                              // 00000000F014: 0B0DED3E
	v_mul_f32_e32 v135, v62, v247                              // 00000000F018: 0B0FEF3E
	v_mul_f32_e32 v136, v62, v248                              // 00000000F01C: 0B11F13E
	v_mul_f32_e32 v137, v62, v249                              // 00000000F020: 0B13F33E
	v_mul_f32_e32 v138, v62, v250                              // 00000000F024: 0B15F53E
	v_mul_f32_e32 v139, v62, v251                              // 00000000F028: 0B17F73E
	v_mul_f32_e32 v140, v62, v252                              // 00000000F02C: 0B19F93E
	v_mul_f32_e32 v141, v62, v253                              // 00000000F030: 0B1BFB3E
	v_mul_f32_e32 v142, v62, v254                              // 00000000F034: 0B1DFD3E
	v_mul_f32_e32 v143, v62, v255                              // 00000000F038: 0B1FFF3E
	v_cvt_pk_fp8_f32 v128, v128, v129                          // 00000000F03C: D2A20080 00030380
	v_cvt_pk_fp8_f32 v128, v130, v131 op_sel:[0,0,1]           // 00000000F044: D2A24080 00030782
	v_cvt_pk_fp8_f32 v129, v132, v133                          // 00000000F04C: D2A20081 00030B84
	v_cvt_pk_fp8_f32 v129, v134, v135 op_sel:[0,0,1]           // 00000000F054: D2A24081 00030F86
	v_cvt_pk_fp8_f32 v130, v136, v137                          // 00000000F05C: D2A20082 00031388
	v_cvt_pk_fp8_f32 v130, v138, v139 op_sel:[0,0,1]           // 00000000F064: D2A24082 0003178A
	v_cvt_pk_fp8_f32 v131, v140, v141                          // 00000000F06C: D2A20083 00031B8C
	v_cvt_pk_fp8_f32 v131, v142, v143 op_sel:[0,0,1]           // 00000000F074: D2A24083 00031F8E
	ds_write_b32 v13, v128 offset:25088                        // 00000000F07C: D81A6200 0000800D
	ds_write_b32 v13, v129 offset:26112                        // 00000000F084: D81A6600 0000810D
	ds_write_b32 v13, v130 offset:27136                        // 00000000F08C: D81A6A00 0000820D
	ds_write_b32 v13, v131 offset:28160                        // 00000000F094: D81A6E00 0000830D
	v_add_f32_e32 v224, v224, v192                             // 00000000F09C: 03C181E0
	v_add_f32_e32 v225, v225, v193                             // 00000000F0A0: 03C383E1
	v_add_f32_e32 v226, v226, v194                             // 00000000F0A4: 03C585E2
	v_add_f32_e32 v227, v227, v195                             // 00000000F0A8: 03C787E3
	v_add_f32_e32 v228, v228, v196                             // 00000000F0AC: 03C989E4
	v_add_f32_e32 v229, v229, v197                             // 00000000F0B0: 03CB8BE5
	v_add_f32_e32 v230, v230, v198                             // 00000000F0B4: 03CD8DE6
	v_add_f32_e32 v231, v231, v199                             // 00000000F0B8: 03CF8FE7
	v_rcp_f32_e32 v58, v62                                     // 00000000F0BC: 7E74453E
	s_waitcnt lgkmcnt(0)                                       // 00000000F0C0: BF8CC07F
	s_barrier                                                  // 00000000F0C4: BF8A0000
	ds_read_b64 v[128:129], v12 offset:25088                   // 00000000F0C8: D8EC6200 8000000C
	ds_read_b64 v[130:131], v12 offset:25216                   // 00000000F0D0: D8EC6280 8200000C
	ds_read_b64 v[132:133], v12 offset:26112                   // 00000000F0D8: D8EC6600 8400000C
	ds_read_b64 v[134:135], v12 offset:26240                   // 00000000F0E0: D8EC6680 8600000C
	ds_read_b64 v[136:137], v12 offset:27136                   // 00000000F0E8: D8EC6A00 8800000C
	ds_read_b64 v[138:139], v12 offset:27264                   // 00000000F0F0: D8EC6A80 8A00000C
	ds_read_b64 v[140:141], v12 offset:28160                   // 00000000F0F8: D8EC6E00 8C00000C
	ds_read_b64 v[142:143], v12 offset:28288                   // 00000000F100: D8EC6E80 8E00000C
	v_mov_b32_dpp v41, v52 row_shr:4 row_mask:0xf bank_mask:0xf// 00000000F108: 7E5202FA FF011434
	v_mov_b32_dpp v42, v52 row_shl:4 row_mask:0xf bank_mask:0xf// 00000000F110: 7E5402FA FF010434
	v_cndmask_b32_e64 v248, v52, v41, s[44:45]                 // 00000000F118: D10000F8 00B25334
	v_cndmask_b32_e64 v249, v42, v52, s[44:45]                 // 00000000F120: D10000F9 00B2692A
	v_mov_b32_dpp v41, v248 row_shr:8 row_mask:0xf bank_mask:0xf// 00000000F128: 7E5202FA FF0118F8
	v_mov_b32_dpp v42, v248 row_shl:8 row_mask:0xf bank_mask:0xf// 00000000F130: 7E5402FA FF0108F8
	v_mov_b32_dpp v43, v249 row_shr:8 row_mask:0xf bank_mask:0xf// 00000000F138: 7E5602FA FF0118F9
	v_mov_b32_dpp v44, v249 row_shl:8 row_mask:0xf bank_mask:0xf// 00000000F140: 7E5802FA FF0108F9
	v_mov_b32_e32 v45, v248                                    // 00000000F148: 7E5A03F8
	v_mov_b32_e32 v46, v249                                    // 00000000F14C: 7E5C03F9
	v_cndmask_b32_e64 v248, v45, v41, s[42:43]                 // 00000000F150: D10000F8 00AA532D
	v_cndmask_b32_e64 v250, v45, v42, s[78:79]                 // 00000000F158: D10000FA 013A552D
	v_cndmask_b32_e64 v249, v46, v43, s[42:43]                 // 00000000F160: D10000F9 00AA572E
	v_cndmask_b32_e64 v251, v46, v44, s[78:79]                 // 00000000F168: D10000FB 013A592E
	v_mov_b32_dpp v41, v72 row_shr:4 row_mask:0xf bank_mask:0xf// 00000000F170: 7E5202FA FF011448
	v_mov_b32_dpp v42, v72 row_shl:4 row_mask:0xf bank_mask:0xf// 00000000F178: 7E5402FA FF010448
	v_cndmask_b32_e64 v252, v72, v41, s[44:45]                 // 00000000F180: D10000FC 00B25348
	v_cndmask_b32_e64 v253, v42, v72, s[44:45]                 // 00000000F188: D10000FD 00B2912A
	v_mov_b32_dpp v41, v252 row_shr:8 row_mask:0xf bank_mask:0xf// 00000000F190: 7E5202FA FF0118FC
	v_mov_b32_dpp v42, v252 row_shl:8 row_mask:0xf bank_mask:0xf// 00000000F198: 7E5402FA FF0108FC
	v_mov_b32_dpp v43, v253 row_shr:8 row_mask:0xf bank_mask:0xf// 00000000F1A0: 7E5602FA FF0118FD
	v_mov_b32_dpp v44, v253 row_shl:8 row_mask:0xf bank_mask:0xf// 00000000F1A8: 7E5802FA FF0108FD
	v_mov_b32_e32 v45, v252                                    // 00000000F1B0: 7E5A03FC
	v_mov_b32_e32 v46, v253                                    // 00000000F1B4: 7E5C03FD
	v_cndmask_b32_e64 v252, v45, v41, s[42:43]                 // 00000000F1B8: D10000FC 00AA532D
	v_cndmask_b32_e64 v254, v45, v42, s[78:79]                 // 00000000F1C0: D10000FE 013A552D
	v_cndmask_b32_e64 v253, v46, v43, s[42:43]                 // 00000000F1C8: D10000FD 00AA572E
	v_cndmask_b32_e64 v255, v46, v44, s[78:79]                 // 00000000F1D0: D10000FF 013A592E
	v_mul_f32_e32 v144, v55, v144                              // 00000000F1D8: 0B212137
	v_mul_f32_e32 v145, v55, v145                              // 00000000F1DC: 0B232337
	v_mul_f32_e32 v146, v55, v146                              // 00000000F1E0: 0B252537
	v_mul_f32_e32 v147, v55, v147                              // 00000000F1E4: 0B272737
	v_mul_f32_e32 v148, v55, v148                              // 00000000F1E8: 0B292937
	v_mul_f32_e32 v149, v55, v149                              // 00000000F1EC: 0B2B2B37
	v_mul_f32_e32 v150, v55, v150                              // 00000000F1F0: 0B2D2D37
	v_mul_f32_e32 v151, v55, v151                              // 00000000F1F4: 0B2F2F37
	v_mul_f32_e32 v152, v55, v152                              // 00000000F1F8: 0B313137
	v_mul_f32_e32 v153, v55, v153                              // 00000000F1FC: 0B333337
	v_mul_f32_e32 v154, v55, v154                              // 00000000F200: 0B353537
	v_mul_f32_e32 v155, v55, v155                              // 00000000F204: 0B373737
	v_mul_f32_e32 v156, v55, v156                              // 00000000F208: 0B393937
	v_mul_f32_e32 v157, v55, v157                              // 00000000F20C: 0B3B3B37
	v_mul_f32_e32 v158, v55, v158                              // 00000000F210: 0B3D3D37
	v_mul_f32_e32 v159, v55, v159                              // 00000000F214: 0B3F3F37
	v_mul_f32_dpp v144, v248, v144 quad_perm:[0,0,0,0] row_mask:0xf bank_mask:0xf// 00000000F218: 0B2120FA FF0000F8
	v_mul_f32_dpp v145, v248, v145 quad_perm:[1,1,1,1] row_mask:0xf bank_mask:0xf// 00000000F220: 0B2322FA FF0055F8
	v_mul_f32_dpp v146, v248, v146 quad_perm:[2,2,2,2] row_mask:0xf bank_mask:0xf// 00000000F228: 0B2524FA FF00AAF8
	v_mul_f32_dpp v147, v248, v147 quad_perm:[3,3,3,3] row_mask:0xf bank_mask:0xf// 00000000F230: 0B2726FA FF00FFF8
	v_mul_f32_dpp v148, v249, v148 quad_perm:[0,0,0,0] row_mask:0xf bank_mask:0xf// 00000000F238: 0B2928FA FF0000F9
	v_mul_f32_dpp v149, v249, v149 quad_perm:[1,1,1,1] row_mask:0xf bank_mask:0xf// 00000000F240: 0B2B2AFA FF0055F9
	v_mul_f32_dpp v150, v249, v150 quad_perm:[2,2,2,2] row_mask:0xf bank_mask:0xf// 00000000F248: 0B2D2CFA FF00AAF9
	v_mul_f32_dpp v151, v249, v151 quad_perm:[3,3,3,3] row_mask:0xf bank_mask:0xf// 00000000F250: 0B2F2EFA FF00FFF9
	v_mul_f32_dpp v152, v250, v152 quad_perm:[0,0,0,0] row_mask:0xf bank_mask:0xf// 00000000F258: 0B3130FA FF0000FA
	v_mul_f32_dpp v153, v250, v153 quad_perm:[1,1,1,1] row_mask:0xf bank_mask:0xf// 00000000F260: 0B3332FA FF0055FA
	v_mul_f32_dpp v154, v250, v154 quad_perm:[2,2,2,2] row_mask:0xf bank_mask:0xf// 00000000F268: 0B3534FA FF00AAFA
	v_mul_f32_dpp v155, v250, v155 quad_perm:[3,3,3,3] row_mask:0xf bank_mask:0xf// 00000000F270: 0B3736FA FF00FFFA
	v_mul_f32_dpp v156, v251, v156 quad_perm:[0,0,0,0] row_mask:0xf bank_mask:0xf// 00000000F278: 0B3938FA FF0000FB
	v_mul_f32_dpp v157, v251, v157 quad_perm:[1,1,1,1] row_mask:0xf bank_mask:0xf// 00000000F280: 0B3B3AFA FF0055FB
	v_mul_f32_dpp v158, v251, v158 quad_perm:[2,2,2,2] row_mask:0xf bank_mask:0xf// 00000000F288: 0B3D3CFA FF00AAFB
	v_mul_f32_dpp v159, v251, v159 quad_perm:[3,3,3,3] row_mask:0xf bank_mask:0xf// 00000000F290: 0B3F3EFA FF00FFFB
	s_and_b32 s60, s72, 0xff                                   // 00000000F298: 863CFF48 000000FF
	v_mov_b32_e32 v42, s60                                     // 00000000F2A0: 7E54023C
	v_lshrrev_b32_e32 v240, 4, v0                              // 00000000F2A4: 21E00084
	v_mul_i32_i24_e32 v240, 4, v240                            // 00000000F2A8: 0DE1E084
	s_mul_i32 s60, s7, 16                                      // 00000000F2AC: 923C9007
	v_add_u32_e32 v240, s60, v240                              // 00000000F2B0: 69E1E03C
	v_add_u32_e32 v241, 1, v240                                // 00000000F2B4: 69E3E081
	v_add_u32_e32 v242, 2, v240                                // 00000000F2B8: 69E5E082
	v_add_u32_e32 v243, 3, v240                                // 00000000F2BC: 69E7E083
	v_mov_b32_e32 v41, 0xff800000                              // 00000000F2C0: 7E5202FF FF800000
	v_cmp_lt_u32_e64 s[40:41], v240, v42                       // 00000000F2C8: D0C90028 000255F0
	v_add_u32_e32 v240, 64, v240                               // 00000000F2D0: 69E1E0C0
	s_nop 0                                                    // 00000000F2D4: BF800000
	v_cndmask_b32_e64 v144, v41, v144, s[40:41]                // 00000000F2D8: D1000090 00A32129
	v_cmp_lt_u32_e64 s[40:41], v241, v42                       // 00000000F2E0: D0C90028 000255F1
	v_add_u32_e32 v241, 64, v241                               // 00000000F2E8: 69E3E2C0
	s_nop 0                                                    // 00000000F2EC: BF800000
	v_cndmask_b32_e64 v145, v41, v145, s[40:41]                // 00000000F2F0: D1000091 00A32329
	v_cmp_lt_u32_e64 s[40:41], v242, v42                       // 00000000F2F8: D0C90028 000255F2
	v_add_u32_e32 v242, 64, v242                               // 00000000F300: 69E5E4C0
	s_nop 0                                                    // 00000000F304: BF800000
	v_cndmask_b32_e64 v146, v41, v146, s[40:41]                // 00000000F308: D1000092 00A32529
	v_cmp_lt_u32_e64 s[40:41], v243, v42                       // 00000000F310: D0C90028 000255F3
	v_add_u32_e32 v243, 64, v243                               // 00000000F318: 69E7E6C0
	s_nop 0                                                    // 00000000F31C: BF800000
	v_cndmask_b32_e64 v147, v41, v147, s[40:41]                // 00000000F320: D1000093 00A32729
	v_cmp_lt_u32_e64 s[40:41], v240, v42                       // 00000000F328: D0C90028 000255F0
	v_add_u32_e32 v240, 64, v240                               // 00000000F330: 69E1E0C0
	s_nop 0                                                    // 00000000F334: BF800000
	v_cndmask_b32_e64 v148, v41, v148, s[40:41]                // 00000000F338: D1000094 00A32929
	v_cmp_lt_u32_e64 s[40:41], v241, v42                       // 00000000F340: D0C90028 000255F1
	v_add_u32_e32 v241, 64, v241                               // 00000000F348: 69E3E2C0
	s_nop 0                                                    // 00000000F34C: BF800000
	v_cndmask_b32_e64 v149, v41, v149, s[40:41]                // 00000000F350: D1000095 00A32B29
	v_cmp_lt_u32_e64 s[40:41], v242, v42                       // 00000000F358: D0C90028 000255F2
	v_add_u32_e32 v242, 64, v242                               // 00000000F360: 69E5E4C0
	s_nop 0                                                    // 00000000F364: BF800000
	v_cndmask_b32_e64 v150, v41, v150, s[40:41]                // 00000000F368: D1000096 00A32D29
	v_cmp_lt_u32_e64 s[40:41], v243, v42                       // 00000000F370: D0C90028 000255F3
	v_add_u32_e32 v243, 64, v243                               // 00000000F378: 69E7E6C0
	s_nop 0                                                    // 00000000F37C: BF800000
	v_cndmask_b32_e64 v151, v41, v151, s[40:41]                // 00000000F380: D1000097 00A32F29
	v_cmp_lt_u32_e64 s[40:41], v240, v42                       // 00000000F388: D0C90028 000255F0
	v_add_u32_e32 v240, 64, v240                               // 00000000F390: 69E1E0C0
	s_nop 0                                                    // 00000000F394: BF800000
	v_cndmask_b32_e64 v152, v41, v152, s[40:41]                // 00000000F398: D1000098 00A33129
	v_cmp_lt_u32_e64 s[40:41], v241, v42                       // 00000000F3A0: D0C90028 000255F1
	v_add_u32_e32 v241, 64, v241                               // 00000000F3A8: 69E3E2C0
	s_nop 0                                                    // 00000000F3AC: BF800000
	v_cndmask_b32_e64 v153, v41, v153, s[40:41]                // 00000000F3B0: D1000099 00A33329
	v_cmp_lt_u32_e64 s[40:41], v242, v42                       // 00000000F3B8: D0C90028 000255F2
	v_add_u32_e32 v242, 64, v242                               // 00000000F3C0: 69E5E4C0
	s_nop 0                                                    // 00000000F3C4: BF800000
	v_cndmask_b32_e64 v154, v41, v154, s[40:41]                // 00000000F3C8: D100009A 00A33529
	v_cmp_lt_u32_e64 s[40:41], v243, v42                       // 00000000F3D0: D0C90028 000255F3
	v_add_u32_e32 v243, 64, v243                               // 00000000F3D8: 69E7E6C0
	s_nop 0                                                    // 00000000F3DC: BF800000
	v_cndmask_b32_e64 v155, v41, v155, s[40:41]                // 00000000F3E0: D100009B 00A33729
	v_cmp_lt_u32_e64 s[40:41], v240, v42                       // 00000000F3E8: D0C90028 000255F0
	v_add_u32_e32 v240, 64, v240                               // 00000000F3F0: 69E1E0C0
	s_nop 0                                                    // 00000000F3F4: BF800000
	v_cndmask_b32_e64 v156, v41, v156, s[40:41]                // 00000000F3F8: D100009C 00A33929
	v_cmp_lt_u32_e64 s[40:41], v241, v42                       // 00000000F400: D0C90028 000255F1
	v_add_u32_e32 v241, 64, v241                               // 00000000F408: 69E3E2C0
	s_nop 0                                                    // 00000000F40C: BF800000
	v_cndmask_b32_e64 v157, v41, v157, s[40:41]                // 00000000F410: D100009D 00A33B29
	v_cmp_lt_u32_e64 s[40:41], v242, v42                       // 00000000F418: D0C90028 000255F2
	v_add_u32_e32 v242, 64, v242                               // 00000000F420: 69E5E4C0
	s_nop 0                                                    // 00000000F424: BF800000
	v_cndmask_b32_e64 v158, v41, v158, s[40:41]                // 00000000F428: D100009E 00A33D29
	v_cmp_lt_u32_e64 s[40:41], v243, v42                       // 00000000F430: D0C90028 000255F3
	v_add_u32_e32 v243, 64, v243                               // 00000000F438: 69E7E6C0
	s_nop 0                                                    // 00000000F43C: BF800000
	v_cndmask_b32_e64 v159, v41, v159, s[40:41]                // 00000000F440: D100009F 00A33F29
	v_mov_b32_e32 v62, v144                                    // 00000000F448: 7E7C0390
	v_max3_f32 v62, v144, v145, v62                            // 00000000F44C: D1D3003E 04FB2390
	v_max3_f32 v62, v146, v147, v62                            // 00000000F454: D1D3003E 04FB2792
	v_max3_f32 v62, v148, v149, v62                            // 00000000F45C: D1D3003E 04FB2B94
	v_max3_f32 v62, v150, v151, v62                            // 00000000F464: D1D3003E 04FB2F96
	v_max3_f32 v62, v152, v153, v62                            // 00000000F46C: D1D3003E 04FB3398
	v_max3_f32 v62, v154, v155, v62                            // 00000000F474: D1D3003E 04FB379A
	v_max3_f32 v62, v156, v157, v62                            // 00000000F47C: D1D3003E 04FB3B9C
	v_max3_f32 v62, v158, v159, v62                            // 00000000F484: D1D3003E 04FB3F9E
	ds_write_b32 v11, v62 offset:16896                         // 00000000F48C: D81A4200 00003E0B
	v_mul_f32_e32 v232, v64, v232                              // 00000000F494: 0BD1D140
	v_mul_f32_e32 v233, v64, v233                              // 00000000F498: 0BD3D340
	v_mul_f32_e32 v234, v64, v234                              // 00000000F49C: 0BD5D540
	v_mul_f32_e32 v235, v64, v235                              // 00000000F4A0: 0BD7D740
	v_mul_f32_e32 v236, v64, v236                              // 00000000F4A4: 0BD9D940
	v_mul_f32_e32 v237, v64, v237                              // 00000000F4A8: 0BDBDB40
	v_mul_f32_e32 v238, v64, v238                              // 00000000F4AC: 0BDDDD40
	v_mul_f32_e32 v239, v64, v239                              // 00000000F4B0: 0BDFDF40
	s_waitcnt lgkmcnt(0)                                       // 00000000F4B4: BF8CC07F
	s_barrier                                                  // 00000000F4B8: BF8A0000
	ds_read_b32 v80, v10 offset:16896                          // 00000000F4BC: D86C4200 5000000A
	ds_read_b32 v81, v10 offset:16960                          // 00000000F4C4: D86C4240 5100000A
	ds_read_b32 v82, v10 offset:17024                          // 00000000F4CC: D86C4280 5200000A
	ds_read_b32 v83, v10 offset:17088                          // 00000000F4D4: D86C42C0 5300000A
	ds_read_b32 v84, v10 offset:17152                          // 00000000F4DC: D86C4300 5400000A
	ds_read_b32 v85, v10 offset:17216                          // 00000000F4E4: D86C4340 5500000A
	ds_read_b32 v86, v10 offset:17280                          // 00000000F4EC: D86C4380 5600000A
	ds_read_b32 v87, v10 offset:17344                          // 00000000F4F4: D86C43C0 5700000A
	ds_read_b32 v88, v10 offset:17408                          // 00000000F4FC: D86C4400 5800000A
	ds_read_b32 v89, v10 offset:17472                          // 00000000F504: D86C4440 5900000A
	ds_read_b32 v90, v10 offset:17536                          // 00000000F50C: D86C4480 5A00000A
	ds_read_b32 v91, v10 offset:17600                          // 00000000F514: D86C44C0 5B00000A
	ds_read_b32 v92, v10 offset:17664                          // 00000000F51C: D86C4500 5C00000A
	ds_read_b32 v93, v10 offset:17728                          // 00000000F524: D86C4540 5D00000A
	ds_read_b32 v94, v10 offset:17792                          // 00000000F52C: D86C4580 5E00000A
	ds_read_b32 v95, v10 offset:17856                          // 00000000F534: D86C45C0 5F00000A
	v_mul_f32_e32 v200, v59, v200                              // 00000000F53C: 0B91913B
	v_mul_f32_e32 v201, v59, v201                              // 00000000F540: 0B93933B
	v_mul_f32_e32 v202, v59, v202                              // 00000000F544: 0B95953B
	v_mul_f32_e32 v203, v59, v203                              // 00000000F548: 0B97973B
	v_mul_f32_e32 v204, v59, v204                              // 00000000F54C: 0B99993B
	v_mul_f32_e32 v205, v59, v205                              // 00000000F550: 0B9B9B3B
	v_mul_f32_e32 v206, v59, v206                              // 00000000F554: 0B9D9D3B
	v_mul_f32_e32 v207, v59, v207                              // 00000000F558: 0B9F9F3B
	s_waitcnt lgkmcnt(0)                                       // 00000000F55C: BF8CC07F
	v_max3_f32 v62, v80, v81, v62                              // 00000000F560: D1D3003E 04FAA350
	v_max3_f32 v62, v82, v83, v62                              // 00000000F568: D1D3003E 04FAA752
	v_max3_f32 v62, v84, v85, v62                              // 00000000F570: D1D3003E 04FAAB54
	v_max3_f32 v62, v86, v87, v62                              // 00000000F578: D1D3003E 04FAAF56
	v_max3_f32 v62, v88, v89, v62                              // 00000000F580: D1D3003E 04FAB358
	v_max3_f32 v62, v90, v91, v62                              // 00000000F588: D1D3003E 04FAB75A
	v_max3_f32 v62, v92, v93, v62                              // 00000000F590: D1D3003E 04FABB5C
	v_max3_f32 v62, v94, v95, v62                              // 00000000F598: D1D3003E 04FABF5E
	v_mov_b32_e32 v41, 0xff800000                              // 00000000F5A0: 7E5202FF FF800000
	v_cmp_eq_u32_e64 s[40:41], v41, v15                        // 00000000F5A8: D0CA0028 00021F29
	s_nop 1                                                    // 00000000F5B0: BF800001
	v_max_f32_e32 v18, v62, v15                                // 00000000F5B4: 16241F3E
	v_mul_f32_e32 v67, s64, v18                                // 00000000F5B8: 0A862440
	v_fma_f32 v144, v144, s64, -v67                            // 00000000F5BC: D1CB0090 850C8190
	v_fma_f32 v145, v145, s64, -v67                            // 00000000F5C4: D1CB0091 850C8191
	v_fma_f32 v146, v146, s64, -v67                            // 00000000F5CC: D1CB0092 850C8192
	v_fma_f32 v147, v147, s64, -v67                            // 00000000F5D4: D1CB0093 850C8193
	v_fma_f32 v148, v148, s64, -v67                            // 00000000F5DC: D1CB0094 850C8194
	v_fma_f32 v149, v149, s64, -v67                            // 00000000F5E4: D1CB0095 850C8195
	v_fma_f32 v150, v150, s64, -v67                            // 00000000F5EC: D1CB0096 850C8196
	v_fma_f32 v151, v151, s64, -v67                            // 00000000F5F4: D1CB0097 850C8197
	v_fma_f32 v152, v152, s64, -v67                            // 00000000F5FC: D1CB0098 850C8198
	v_fma_f32 v153, v153, s64, -v67                            // 00000000F604: D1CB0099 850C8199
	v_fma_f32 v154, v154, s64, -v67                            // 00000000F60C: D1CB009A 850C819A
	v_fma_f32 v155, v155, s64, -v67                            // 00000000F614: D1CB009B 850C819B
	v_fma_f32 v156, v156, s64, -v67                            // 00000000F61C: D1CB009C 850C819C
	v_fma_f32 v157, v157, s64, -v67                            // 00000000F624: D1CB009D 850C819D
	v_fma_f32 v158, v158, s64, -v67                            // 00000000F62C: D1CB009E 850C819E
	v_fma_f32 v159, v159, s64, -v67                            // 00000000F634: D1CB009F 850C819F
	v_exp_f32_e32 v144, v144                                   // 00000000F63C: 7F204190
	v_exp_f32_e32 v145, v145                                   // 00000000F640: 7F224191
	v_exp_f32_e32 v146, v146                                   // 00000000F644: 7F244192
	v_exp_f32_e32 v147, v147                                   // 00000000F648: 7F264193
	v_exp_f32_e32 v148, v148                                   // 00000000F64C: 7F284194
	v_exp_f32_e32 v149, v149                                   // 00000000F650: 7F2A4195
	v_exp_f32_e32 v150, v150                                   // 00000000F654: 7F2C4196
	v_exp_f32_e32 v151, v151                                   // 00000000F658: 7F2E4197
	v_exp_f32_e32 v152, v152                                   // 00000000F65C: 7F304198
	v_exp_f32_e32 v153, v153                                   // 00000000F660: 7F324199
	v_exp_f32_e32 v154, v154                                   // 00000000F664: 7F34419A
	v_exp_f32_e32 v155, v155                                   // 00000000F668: 7F36419B
	v_exp_f32_e32 v156, v156                                   // 00000000F66C: 7F38419C
	v_exp_f32_e32 v157, v157                                   // 00000000F670: 7F3A419D
	v_exp_f32_e32 v158, v158                                   // 00000000F674: 7F3C419E
	v_exp_f32_e32 v159, v159                                   // 00000000F678: 7F3E419F
	v_mul_f32_dpp v240, v252, v144 quad_perm:[0,0,0,0] row_mask:0xf bank_mask:0xf// 00000000F67C: 0BE120FA FF0000FC
	v_mul_f32_dpp v241, v252, v145 quad_perm:[1,1,1,1] row_mask:0xf bank_mask:0xf// 00000000F684: 0BE322FA FF0055FC
	v_mul_f32_dpp v242, v252, v146 quad_perm:[2,2,2,2] row_mask:0xf bank_mask:0xf// 00000000F68C: 0BE524FA FF00AAFC
	v_mul_f32_dpp v243, v252, v147 quad_perm:[3,3,3,3] row_mask:0xf bank_mask:0xf// 00000000F694: 0BE726FA FF00FFFC
	v_mul_f32_dpp v244, v253, v148 quad_perm:[0,0,0,0] row_mask:0xf bank_mask:0xf// 00000000F69C: 0BE928FA FF0000FD
	v_mul_f32_dpp v245, v253, v149 quad_perm:[1,1,1,1] row_mask:0xf bank_mask:0xf// 00000000F6A4: 0BEB2AFA FF0055FD
	v_mul_f32_dpp v246, v253, v150 quad_perm:[2,2,2,2] row_mask:0xf bank_mask:0xf// 00000000F6AC: 0BED2CFA FF00AAFD
	v_mul_f32_dpp v247, v253, v151 quad_perm:[3,3,3,3] row_mask:0xf bank_mask:0xf// 00000000F6B4: 0BEF2EFA FF00FFFD
	v_mul_f32_dpp v248, v254, v152 quad_perm:[0,0,0,0] row_mask:0xf bank_mask:0xf// 00000000F6BC: 0BF130FA FF0000FE
	v_mul_f32_dpp v249, v254, v153 quad_perm:[1,1,1,1] row_mask:0xf bank_mask:0xf// 00000000F6C4: 0BF332FA FF0055FE
	v_mul_f32_dpp v250, v254, v154 quad_perm:[2,2,2,2] row_mask:0xf bank_mask:0xf// 00000000F6CC: 0BF534FA FF00AAFE
	v_mul_f32_dpp v251, v254, v155 quad_perm:[3,3,3,3] row_mask:0xf bank_mask:0xf// 00000000F6D4: 0BF736FA FF00FFFE
	v_mul_f32_dpp v252, v255, v156 quad_perm:[0,0,0,0] row_mask:0xf bank_mask:0xf// 00000000F6DC: 0BF938FA FF0000FF
	v_mul_f32_dpp v253, v255, v157 quad_perm:[1,1,1,1] row_mask:0xf bank_mask:0xf// 00000000F6E4: 0BFB3AFA FF0055FF
	v_mul_f32_dpp v254, v255, v158 quad_perm:[2,2,2,2] row_mask:0xf bank_mask:0xf// 00000000F6EC: 0BFD3CFA FF00AAFF
	v_mul_f32_dpp v255, v255, v159 quad_perm:[3,3,3,3] row_mask:0xf bank_mask:0xf// 00000000F6F4: 0BFF3EFA FF00FFFF
	v_mov_b32_e32 v62, 0x358637bd                              // 00000000F6FC: 7E7C02FF 358637BD
	v_max3_f32 v62, |v240|, |v241|, v62                        // 00000000F704: D1D3033E 04FBE3F0
	v_max3_f32 v62, |v242|, |v243|, v62                        // 00000000F70C: D1D3033E 04FBE7F2
	v_max3_f32 v62, |v244|, |v245|, v62                        // 00000000F714: D1D3033E 04FBEBF4
	v_max3_f32 v62, |v246|, |v247|, v62                        // 00000000F71C: D1D3033E 04FBEFF6
	v_max3_f32 v62, |v248|, |v249|, v62                        // 00000000F724: D1D3033E 04FBF3F8
	v_max3_f32 v62, |v250|, |v251|, v62                        // 00000000F72C: D1D3033E 04FBF7FA
	v_max3_f32 v62, |v252|, |v253|, v62                        // 00000000F734: D1D3033E 04FBFBFC
	v_max3_f32 v62, |v254|, |v255|, v62                        // 00000000F73C: D1D3033E 04FBFFFE
	ds_write_b32 v11, v62 offset:20992                         // 00000000F744: D81A5200 00003E0B
	v_sub_f32_e32 v64, v15, v18                                // 00000000F74C: 0480250F
	v_cndmask_b32_e64 v64, v64, 0, s[40:41]                    // 00000000F750: D1000040 00A10140
	v_mov_b32_e32 v15, v18                                     // 00000000F758: 7E1E0312
	v_mul_f32_e32 v64, s64, v64                                // 00000000F75C: 0A808040
	v_exp_f32_e32 v64, v64                                     // 00000000F760: 7E804140
	s_waitcnt lgkmcnt(0)                                       // 00000000F764: BF8CC07F
	s_barrier                                                  // 00000000F768: BF8A0000
	ds_read_b32 v80, v10 offset:20992                          // 00000000F76C: D86C5200 5000000A
	ds_read_b32 v81, v10 offset:21056                          // 00000000F774: D86C5240 5100000A
	ds_read_b32 v82, v10 offset:21120                          // 00000000F77C: D86C5280 5200000A
	ds_read_b32 v83, v10 offset:21184                          // 00000000F784: D86C52C0 5300000A
	ds_read_b32 v84, v10 offset:21248                          // 00000000F78C: D86C5300 5400000A
	ds_read_b32 v85, v10 offset:21312                          // 00000000F794: D86C5340 5500000A
	ds_read_b32 v86, v10 offset:21376                          // 00000000F79C: D86C5380 5600000A
	ds_read_b32 v87, v10 offset:21440                          // 00000000F7A4: D86C53C0 5700000A
	ds_read_b32 v88, v10 offset:21504                          // 00000000F7AC: D86C5400 5800000A
	ds_read_b32 v89, v10 offset:21568                          // 00000000F7B4: D86C5440 5900000A
	ds_read_b32 v90, v10 offset:21632                          // 00000000F7BC: D86C5480 5A00000A
	ds_read_b32 v91, v10 offset:21696                          // 00000000F7C4: D86C54C0 5B00000A
	ds_read_b32 v92, v10 offset:21760                          // 00000000F7CC: D86C5500 5C00000A
	ds_read_b32 v93, v10 offset:21824                          // 00000000F7D4: D86C5540 5D00000A
	ds_read_b32 v94, v10 offset:21888                          // 00000000F7DC: D86C5580 5E00000A
	ds_read_b32 v95, v10 offset:21952                          // 00000000F7E4: D86C55C0 5F00000A
	v_mul_f32_e32 v48, v64, v48                                // 00000000F7EC: 0A606140
	v_mov_b32_e32 v18, v144                                    // 00000000F7F0: 7E240390
	v_add_f32_e32 v18, v145, v18                               // 00000000F7F4: 02242591
	v_add_f32_e32 v18, v146, v18                               // 00000000F7F8: 02242592
	v_add_f32_e32 v18, v147, v18                               // 00000000F7FC: 02242593
	v_add_f32_e32 v18, v148, v18                               // 00000000F800: 02242594
	v_add_f32_e32 v18, v149, v18                               // 00000000F804: 02242595
	v_add_f32_e32 v18, v150, v18                               // 00000000F808: 02242596
	v_add_f32_e32 v18, v151, v18                               // 00000000F80C: 02242597
	v_add_f32_e32 v18, v152, v18                               // 00000000F810: 02242598
	v_add_f32_e32 v18, v153, v18                               // 00000000F814: 02242599
	v_add_f32_e32 v18, v154, v18                               // 00000000F818: 0224259A
	v_add_f32_e32 v18, v155, v18                               // 00000000F81C: 0224259B
	v_add_f32_e32 v18, v156, v18                               // 00000000F820: 0224259C
	v_add_f32_e32 v18, v157, v18                               // 00000000F824: 0224259D
	v_add_f32_e32 v18, v158, v18                               // 00000000F828: 0224259E
	v_add_f32_e32 v18, v159, v18                               // 00000000F82C: 0224259F
	v_add_f32_e32 v48, v18, v48                                // 00000000F830: 02606112
	s_waitcnt lgkmcnt(0)                                       // 00000000F834: BF8CC07F
	v_max3_f32 v62, |v80|, |v81|, v62                          // 00000000F838: D1D3033E 04FAA350
	v_max3_f32 v62, |v82|, |v83|, v62                          // 00000000F840: D1D3033E 04FAA752
	v_max3_f32 v62, |v84|, |v85|, v62                          // 00000000F848: D1D3033E 04FAAB54
	v_max3_f32 v62, |v86|, |v87|, v62                          // 00000000F850: D1D3033E 04FAAF56
	v_max3_f32 v62, |v88|, |v89|, v62                          // 00000000F858: D1D3033E 04FAB358
	v_max3_f32 v62, |v90|, |v91|, v62                          // 00000000F860: D1D3033E 04FAB75A
	v_max3_f32 v62, |v92|, |v93|, v62                          // 00000000F868: D1D3033E 04FABB5C
	v_max3_f32 v62, |v94|, |v95|, v62                          // 00000000F870: D1D3033E 04FABF5E
	s_nop 2                                                    // 00000000F878: BF800002
	v_rcp_f32_e32 v62, v62                                     // 00000000F87C: 7E7C453E
	s_nop 1                                                    // 00000000F880: BF800001
	v_mul_f32_e32 v62, 0x43700000, v62                         // 00000000F884: 0A7C7CFF 43700000
	v_mul_f32_e32 v144, v62, v240                              // 00000000F88C: 0B21E13E
	v_mul_f32_e32 v145, v62, v241                              // 00000000F890: 0B23E33E
	v_mul_f32_e32 v146, v62, v242                              // 00000000F894: 0B25E53E
	v_mul_f32_e32 v147, v62, v243                              // 00000000F898: 0B27E73E
	v_mul_f32_e32 v148, v62, v244                              // 00000000F89C: 0B29E93E
	v_mul_f32_e32 v149, v62, v245                              // 00000000F8A0: 0B2BEB3E
	v_mul_f32_e32 v150, v62, v246                              // 00000000F8A4: 0B2DED3E
	v_mul_f32_e32 v151, v62, v247                              // 00000000F8A8: 0B2FEF3E
	v_mul_f32_e32 v152, v62, v248                              // 00000000F8AC: 0B31F13E
	v_mul_f32_e32 v153, v62, v249                              // 00000000F8B0: 0B33F33E
	v_mul_f32_e32 v154, v62, v250                              // 00000000F8B4: 0B35F53E
	v_mul_f32_e32 v155, v62, v251                              // 00000000F8B8: 0B37F73E
	v_mul_f32_e32 v156, v62, v252                              // 00000000F8BC: 0B39F93E
	v_mul_f32_e32 v157, v62, v253                              // 00000000F8C0: 0B3BFB3E
	v_mul_f32_e32 v158, v62, v254                              // 00000000F8C4: 0B3DFD3E
	v_mul_f32_e32 v159, v62, v255                              // 00000000F8C8: 0B3FFF3E
	v_cvt_pk_fp8_f32 v144, v144, v145                          // 00000000F8CC: D2A20090 00032390
	v_cvt_pk_fp8_f32 v144, v146, v147 op_sel:[0,0,1]           // 00000000F8D4: D2A24090 00032792
	v_cvt_pk_fp8_f32 v145, v148, v149                          // 00000000F8DC: D2A20091 00032B94
	v_cvt_pk_fp8_f32 v145, v150, v151 op_sel:[0,0,1]           // 00000000F8E4: D2A24091 00032F96
	v_cvt_pk_fp8_f32 v146, v152, v153                          // 00000000F8EC: D2A20092 00033398
	v_cvt_pk_fp8_f32 v146, v154, v155 op_sel:[0,0,1]           // 00000000F8F4: D2A24092 0003379A
	v_cvt_pk_fp8_f32 v147, v156, v157                          // 00000000F8FC: D2A20093 00033B9C
	v_cvt_pk_fp8_f32 v147, v158, v159 op_sel:[0,0,1]           // 00000000F904: D2A24093 00033F9E
	ds_write_b32 v13, v144 offset:29184                        // 00000000F90C: D81A7200 0000900D
	ds_write_b32 v13, v145 offset:30208                        // 00000000F914: D81A7600 0000910D
	ds_write_b32 v13, v146 offset:31232                        // 00000000F91C: D81A7A00 0000920D
	ds_write_b32 v13, v147 offset:32256                        // 00000000F924: D81A7E00 0000930D
	v_add_f32_e32 v232, v232, v200                             // 00000000F92C: 03D191E8
	v_add_f32_e32 v233, v233, v201                             // 00000000F930: 03D393E9
	v_add_f32_e32 v234, v234, v202                             // 00000000F934: 03D595EA
	v_add_f32_e32 v235, v235, v203                             // 00000000F938: 03D797EB
	v_add_f32_e32 v236, v236, v204                             // 00000000F93C: 03D999EC
	v_add_f32_e32 v237, v237, v205                             // 00000000F940: 03DB9BED
	v_add_f32_e32 v238, v238, v206                             // 00000000F944: 03DD9DEE
	v_add_f32_e32 v239, v239, v207                             // 00000000F948: 03DF9FEF
	v_rcp_f32_e32 v59, v62                                     // 00000000F94C: 7E76453E
	s_waitcnt lgkmcnt(0)                                       // 00000000F950: BF8CC07F
	s_barrier                                                  // 00000000F954: BF8A0000
	ds_read_b64 v[144:145], v12 offset:29184                   // 00000000F958: D8EC7200 9000000C
	ds_read_b64 v[146:147], v12 offset:29312                   // 00000000F960: D8EC7280 9200000C
	ds_read_b64 v[148:149], v12 offset:30208                   // 00000000F968: D8EC7600 9400000C
	ds_read_b64 v[150:151], v12 offset:30336                   // 00000000F970: D8EC7680 9600000C
	ds_read_b64 v[152:153], v12 offset:31232                   // 00000000F978: D8EC7A00 9800000C
	ds_read_b64 v[154:155], v12 offset:31360                   // 00000000F980: D8EC7A80 9A00000C
	ds_read_b64 v[156:157], v12 offset:32256                   // 00000000F988: D8EC7E00 9C00000C
	ds_read_b64 v[158:159], v12 offset:32384                   // 00000000F990: D8EC7E80 9E00000C
	s_waitcnt vmcnt(0)                                         // 00000000F998: BF8C0F70
	s_barrier                                                  // 00000000F99C: BF8A0000
	v_mfma_f32_16x16x32_fp8_fp8 v[192:195], a[64:65], v[128:129], 0// 00000000F9A0: D3F300C0 0A030140
	v_mfma_f32_16x16x32_fp8_fp8 v[192:195], a[66:67], v[130:131], v[192:195]// 00000000F9A8: D3F300C0 0F030542
	v_mfma_f32_16x16x32_fp8_fp8 v[192:195], a[68:69], v[132:133], v[192:195]// 00000000F9B0: D3F300C0 0F030944
	v_mfma_f32_16x16x32_fp8_fp8 v[192:195], a[70:71], v[134:135], v[192:195]// 00000000F9B8: D3F300C0 0F030D46
	v_mfma_f32_16x16x32_fp8_fp8 v[192:195], a[72:73], v[136:137], v[192:195]// 00000000F9C0: D3F300C0 0F031148
	v_mfma_f32_16x16x32_fp8_fp8 v[192:195], a[74:75], v[138:139], v[192:195]// 00000000F9C8: D3F300C0 0F03154A
	v_mfma_f32_16x16x32_fp8_fp8 v[192:195], a[76:77], v[140:141], v[192:195]// 00000000F9D0: D3F300C0 0F03194C
	v_mfma_f32_16x16x32_fp8_fp8 v[192:195], a[78:79], v[142:143], v[192:195]// 00000000F9D8: D3F300C0 0F031D4E
	v_mfma_f32_16x16x32_fp8_fp8 v[196:199], a[80:81], v[128:129], 0// 00000000F9E0: D3F300C4 0A030150
	v_mfma_f32_16x16x32_fp8_fp8 v[196:199], a[82:83], v[130:131], v[196:199]// 00000000F9E8: D3F300C4 0F130552
	v_mfma_f32_16x16x32_fp8_fp8 v[196:199], a[84:85], v[132:133], v[196:199]// 00000000F9F0: D3F300C4 0F130954
	v_mfma_f32_16x16x32_fp8_fp8 v[196:199], a[86:87], v[134:135], v[196:199]// 00000000F9F8: D3F300C4 0F130D56
	v_mfma_f32_16x16x32_fp8_fp8 v[196:199], a[88:89], v[136:137], v[196:199]// 00000000FA00: D3F300C4 0F131158
	v_mfma_f32_16x16x32_fp8_fp8 v[196:199], a[90:91], v[138:139], v[196:199]// 00000000FA08: D3F300C4 0F13155A
	v_mfma_f32_16x16x32_fp8_fp8 v[196:199], a[92:93], v[140:141], v[196:199]// 00000000FA10: D3F300C4 0F13195C
	v_mfma_f32_16x16x32_fp8_fp8 v[196:199], a[94:95], v[142:143], v[196:199]// 00000000FA18: D3F300C4 0F131D5E
	v_mfma_f32_16x16x32_fp8_fp8 v[200:203], a[64:65], v[144:145], 0// 00000000FA20: D3F300C8 0A032140
	v_mfma_f32_16x16x32_fp8_fp8 v[200:203], a[66:67], v[146:147], v[200:203]// 00000000FA28: D3F300C8 0F232542
	v_mfma_f32_16x16x32_fp8_fp8 v[200:203], a[68:69], v[148:149], v[200:203]// 00000000FA30: D3F300C8 0F232944
	v_mfma_f32_16x16x32_fp8_fp8 v[200:203], a[70:71], v[150:151], v[200:203]// 00000000FA38: D3F300C8 0F232D46
	v_mfma_f32_16x16x32_fp8_fp8 v[200:203], a[72:73], v[152:153], v[200:203]// 00000000FA40: D3F300C8 0F233148
	v_mfma_f32_16x16x32_fp8_fp8 v[200:203], a[74:75], v[154:155], v[200:203]// 00000000FA48: D3F300C8 0F23354A
	v_mfma_f32_16x16x32_fp8_fp8 v[200:203], a[76:77], v[156:157], v[200:203]// 00000000FA50: D3F300C8 0F23394C
	v_mfma_f32_16x16x32_fp8_fp8 v[200:203], a[78:79], v[158:159], v[200:203]// 00000000FA58: D3F300C8 0F233D4E
	v_mfma_f32_16x16x32_fp8_fp8 v[204:207], a[80:81], v[144:145], 0// 00000000FA60: D3F300CC 0A032150
	v_mfma_f32_16x16x32_fp8_fp8 v[204:207], a[82:83], v[146:147], v[204:207]// 00000000FA68: D3F300CC 0F332552
	v_mfma_f32_16x16x32_fp8_fp8 v[204:207], a[84:85], v[148:149], v[204:207]// 00000000FA70: D3F300CC 0F332954
	v_mfma_f32_16x16x32_fp8_fp8 v[204:207], a[86:87], v[150:151], v[204:207]// 00000000FA78: D3F300CC 0F332D56
	v_mfma_f32_16x16x32_fp8_fp8 v[204:207], a[88:89], v[152:153], v[204:207]// 00000000FA80: D3F300CC 0F333158
	v_mfma_f32_16x16x32_fp8_fp8 v[204:207], a[90:91], v[154:155], v[204:207]// 00000000FA88: D3F300CC 0F33355A
	v_mfma_f32_16x16x32_fp8_fp8 v[204:207], a[92:93], v[156:157], v[204:207]// 00000000FA90: D3F300CC 0F33395C
	v_mfma_f32_16x16x32_fp8_fp8 v[204:207], a[94:95], v[158:159], v[204:207]// 00000000FA98: D3F300CC 0F333D5E
	s_nop 4                                                    // 00000000FAA0: BF800004
	s_branch label_3B04                                        // 00000000FAA4: BF8204DA

000000000000faa8 <label_362A>:
	s_waitcnt vmcnt(8) lgkmcnt(0)                              // 00000000FAA8: BF8C0078
	s_barrier                                                  // 00000000FAAC: BF8A0000
	v_mfma_f32_16x16x32_fp8_fp8 v[128:131], a[32:33], v[96:97], 0// 00000000FAB0: D3F30080 0A02C120
	v_mfma_f32_16x16x32_fp8_fp8 v[128:131], a[34:35], v[98:99], v[128:131]// 00000000FAB8: D3F30080 0E02C522
	v_mfma_f32_16x16x32_fp8_fp8 v[128:131], a[36:37], v[100:101], v[128:131]// 00000000FAC0: D3F30080 0E02C924
	v_mfma_f32_16x16x32_fp8_fp8 v[128:131], a[38:39], v[102:103], v[128:131]// 00000000FAC8: D3F30080 0E02CD26
	v_mfma_f32_16x16x32_fp8_fp8 v[132:135], a[40:41], v[96:97], 0// 00000000FAD0: D3F30084 0A02C128
	v_mfma_f32_16x16x32_fp8_fp8 v[132:135], a[42:43], v[98:99], v[132:135]// 00000000FAD8: D3F30084 0E12C52A
	v_mfma_f32_16x16x32_fp8_fp8 v[132:135], a[44:45], v[100:101], v[132:135]// 00000000FAE0: D3F30084 0E12C92C
	v_mfma_f32_16x16x32_fp8_fp8 v[132:135], a[46:47], v[102:103], v[132:135]// 00000000FAE8: D3F30084 0E12CD2E
	v_mfma_f32_16x16x32_fp8_fp8 v[136:139], a[48:49], v[96:97], 0// 00000000FAF0: D3F30088 0A02C130
	v_mfma_f32_16x16x32_fp8_fp8 v[136:139], a[50:51], v[98:99], v[136:139]// 00000000FAF8: D3F30088 0E22C532
	v_mfma_f32_16x16x32_fp8_fp8 v[136:139], a[52:53], v[100:101], v[136:139]// 00000000FB00: D3F30088 0E22C934
	v_mfma_f32_16x16x32_fp8_fp8 v[136:139], a[54:55], v[102:103], v[136:139]// 00000000FB08: D3F30088 0E22CD36
	v_mfma_f32_16x16x32_fp8_fp8 v[140:143], a[56:57], v[96:97], 0// 00000000FB10: D3F3008C 0A02C138
	v_mfma_f32_16x16x32_fp8_fp8 v[140:143], a[58:59], v[98:99], v[140:143]// 00000000FB18: D3F3008C 0E32C53A
	v_mfma_f32_16x16x32_fp8_fp8 v[140:143], a[60:61], v[100:101], v[140:143]// 00000000FB20: D3F3008C 0E32C93C
	v_mfma_f32_16x16x32_fp8_fp8 v[140:143], a[62:63], v[102:103], v[140:143]// 00000000FB28: D3F3008C 0E32CD3E
	v_mfma_f32_16x16x32_fp8_fp8 v[144:147], a[32:33], v[104:105], 0// 00000000FB30: D3F30090 0A02D120
	v_mfma_f32_16x16x32_fp8_fp8 v[144:147], a[34:35], v[106:107], v[144:147]// 00000000FB38: D3F30090 0E42D522
	v_mfma_f32_16x16x32_fp8_fp8 v[144:147], a[36:37], v[108:109], v[144:147]// 00000000FB40: D3F30090 0E42D924
	v_mfma_f32_16x16x32_fp8_fp8 v[144:147], a[38:39], v[110:111], v[144:147]// 00000000FB48: D3F30090 0E42DD26
	v_mfma_f32_16x16x32_fp8_fp8 v[148:151], a[40:41], v[104:105], 0// 00000000FB50: D3F30094 0A02D128
	v_mfma_f32_16x16x32_fp8_fp8 v[148:151], a[42:43], v[106:107], v[148:151]// 00000000FB58: D3F30094 0E52D52A
	v_mfma_f32_16x16x32_fp8_fp8 v[148:151], a[44:45], v[108:109], v[148:151]// 00000000FB60: D3F30094 0E52D92C
	v_mfma_f32_16x16x32_fp8_fp8 v[148:151], a[46:47], v[110:111], v[148:151]// 00000000FB68: D3F30094 0E52DD2E
	v_mfma_f32_16x16x32_fp8_fp8 v[152:155], a[48:49], v[104:105], 0// 00000000FB70: D3F30098 0A02D130
	v_mfma_f32_16x16x32_fp8_fp8 v[152:155], a[50:51], v[106:107], v[152:155]// 00000000FB78: D3F30098 0E62D532
	v_mfma_f32_16x16x32_fp8_fp8 v[152:155], a[52:53], v[108:109], v[152:155]// 00000000FB80: D3F30098 0E62D934
	v_mfma_f32_16x16x32_fp8_fp8 v[152:155], a[54:55], v[110:111], v[152:155]// 00000000FB88: D3F30098 0E62DD36
	v_mfma_f32_16x16x32_fp8_fp8 v[156:159], a[56:57], v[104:105], 0// 00000000FB90: D3F3009C 0A02D138
	v_mfma_f32_16x16x32_fp8_fp8 v[156:159], a[58:59], v[106:107], v[156:159]// 00000000FB98: D3F3009C 0E72D53A
	v_mfma_f32_16x16x32_fp8_fp8 v[156:159], a[60:61], v[108:109], v[156:159]// 00000000FBA0: D3F3009C 0E72D93C
	v_mfma_f32_16x16x32_fp8_fp8 v[156:159], a[62:63], v[110:111], v[156:159]// 00000000FBA8: D3F3009C 0E72DD3E
	v_mov_b32_dpp v41, v53 row_shr:4 row_mask:0xf bank_mask:0xf// 00000000FBB0: 7E5202FA FF011435
	v_mov_b32_dpp v42, v53 row_shl:4 row_mask:0xf bank_mask:0xf// 00000000FBB8: 7E5402FA FF010435
	v_cndmask_b32_e64 v248, v53, v41, s[44:45]                 // 00000000FBC0: D10000F8 00B25335
	v_cndmask_b32_e64 v249, v42, v53, s[44:45]                 // 00000000FBC8: D10000F9 00B26B2A
	v_mov_b32_dpp v41, v248 row_shr:8 row_mask:0xf bank_mask:0xf// 00000000FBD0: 7E5202FA FF0118F8
	v_mov_b32_dpp v42, v248 row_shl:8 row_mask:0xf bank_mask:0xf// 00000000FBD8: 7E5402FA FF0108F8
	v_mov_b32_dpp v43, v249 row_shr:8 row_mask:0xf bank_mask:0xf// 00000000FBE0: 7E5602FA FF0118F9
	v_mov_b32_dpp v44, v249 row_shl:8 row_mask:0xf bank_mask:0xf// 00000000FBE8: 7E5802FA FF0108F9
	v_mov_b32_e32 v45, v248                                    // 00000000FBF0: 7E5A03F8
	v_mov_b32_e32 v46, v249                                    // 00000000FBF4: 7E5C03F9
	v_cndmask_b32_e64 v248, v45, v41, s[42:43]                 // 00000000FBF8: D10000F8 00AA532D
	v_cndmask_b32_e64 v250, v45, v42, s[78:79]                 // 00000000FC00: D10000FA 013A552D
	v_cndmask_b32_e64 v249, v46, v43, s[42:43]                 // 00000000FC08: D10000F9 00AA572E
	v_cndmask_b32_e64 v251, v46, v44, s[78:79]                 // 00000000FC10: D10000FB 013A592E
	v_mov_b32_dpp v41, v73 row_shr:4 row_mask:0xf bank_mask:0xf// 00000000FC18: 7E5202FA FF011449
	v_mov_b32_dpp v42, v73 row_shl:4 row_mask:0xf bank_mask:0xf// 00000000FC20: 7E5402FA FF010449
	v_cndmask_b32_e64 v252, v73, v41, s[44:45]                 // 00000000FC28: D10000FC 00B25349
	v_cndmask_b32_e64 v253, v42, v73, s[44:45]                 // 00000000FC30: D10000FD 00B2932A
	v_mov_b32_dpp v41, v252 row_shr:8 row_mask:0xf bank_mask:0xf// 00000000FC38: 7E5202FA FF0118FC
	v_mov_b32_dpp v42, v252 row_shl:8 row_mask:0xf bank_mask:0xf// 00000000FC40: 7E5402FA FF0108FC
	v_mov_b32_dpp v43, v253 row_shr:8 row_mask:0xf bank_mask:0xf// 00000000FC48: 7E5602FA FF0118FD
	v_mov_b32_dpp v44, v253 row_shl:8 row_mask:0xf bank_mask:0xf// 00000000FC50: 7E5802FA FF0108FD
	v_mov_b32_e32 v45, v252                                    // 00000000FC58: 7E5A03FC
	v_mov_b32_e32 v46, v253                                    // 00000000FC5C: 7E5C03FD
	v_cndmask_b32_e64 v252, v45, v41, s[42:43]                 // 00000000FC60: D10000FC 00AA532D
	v_cndmask_b32_e64 v254, v45, v42, s[78:79]                 // 00000000FC68: D10000FE 013A552D
	v_cndmask_b32_e64 v253, v46, v43, s[42:43]                 // 00000000FC70: D10000FD 00AA572E
	v_cndmask_b32_e64 v255, v46, v44, s[78:79]                 // 00000000FC78: D10000FF 013A592E
	v_mul_f32_e32 v128, v54, v128                              // 00000000FC80: 0B010136
	v_mul_f32_e32 v129, v54, v129                              // 00000000FC84: 0B030336
	v_mul_f32_e32 v130, v54, v130                              // 00000000FC88: 0B050536
	v_mul_f32_e32 v131, v54, v131                              // 00000000FC8C: 0B070736
	v_mul_f32_e32 v132, v54, v132                              // 00000000FC90: 0B090936
	v_mul_f32_e32 v133, v54, v133                              // 00000000FC94: 0B0B0B36
	v_mul_f32_e32 v134, v54, v134                              // 00000000FC98: 0B0D0D36
	v_mul_f32_e32 v135, v54, v135                              // 00000000FC9C: 0B0F0F36
	v_mul_f32_e32 v136, v54, v136                              // 00000000FCA0: 0B111136
	v_mul_f32_e32 v137, v54, v137                              // 00000000FCA4: 0B131336
	v_mul_f32_e32 v138, v54, v138                              // 00000000FCA8: 0B151536
	v_mul_f32_e32 v139, v54, v139                              // 00000000FCAC: 0B171736
	v_mul_f32_e32 v140, v54, v140                              // 00000000FCB0: 0B191936
	v_mul_f32_e32 v141, v54, v141                              // 00000000FCB4: 0B1B1B36
	v_mul_f32_e32 v142, v54, v142                              // 00000000FCB8: 0B1D1D36
	v_mul_f32_e32 v143, v54, v143                              // 00000000FCBC: 0B1F1F36
	v_mul_f32_dpp v128, v248, v128 quad_perm:[0,0,0,0] row_mask:0xf bank_mask:0xf// 00000000FCC0: 0B0100FA FF0000F8
	v_mul_f32_dpp v129, v248, v129 quad_perm:[1,1,1,1] row_mask:0xf bank_mask:0xf// 00000000FCC8: 0B0302FA FF0055F8
	v_mul_f32_dpp v130, v248, v130 quad_perm:[2,2,2,2] row_mask:0xf bank_mask:0xf// 00000000FCD0: 0B0504FA FF00AAF8
	v_mul_f32_dpp v131, v248, v131 quad_perm:[3,3,3,3] row_mask:0xf bank_mask:0xf// 00000000FCD8: 0B0706FA FF00FFF8
	v_mul_f32_dpp v132, v249, v132 quad_perm:[0,0,0,0] row_mask:0xf bank_mask:0xf// 00000000FCE0: 0B0908FA FF0000F9
	v_mul_f32_dpp v133, v249, v133 quad_perm:[1,1,1,1] row_mask:0xf bank_mask:0xf// 00000000FCE8: 0B0B0AFA FF0055F9
	v_mul_f32_dpp v134, v249, v134 quad_perm:[2,2,2,2] row_mask:0xf bank_mask:0xf// 00000000FCF0: 0B0D0CFA FF00AAF9
	v_mul_f32_dpp v135, v249, v135 quad_perm:[3,3,3,3] row_mask:0xf bank_mask:0xf// 00000000FCF8: 0B0F0EFA FF00FFF9
	v_mul_f32_dpp v136, v250, v136 quad_perm:[0,0,0,0] row_mask:0xf bank_mask:0xf// 00000000FD00: 0B1110FA FF0000FA
	v_mul_f32_dpp v137, v250, v137 quad_perm:[1,1,1,1] row_mask:0xf bank_mask:0xf// 00000000FD08: 0B1312FA FF0055FA
	v_mul_f32_dpp v138, v250, v138 quad_perm:[2,2,2,2] row_mask:0xf bank_mask:0xf// 00000000FD10: 0B1514FA FF00AAFA
	v_mul_f32_dpp v139, v250, v139 quad_perm:[3,3,3,3] row_mask:0xf bank_mask:0xf// 00000000FD18: 0B1716FA FF00FFFA
	v_mul_f32_dpp v140, v251, v140 quad_perm:[0,0,0,0] row_mask:0xf bank_mask:0xf// 00000000FD20: 0B1918FA FF0000FB
	v_mul_f32_dpp v141, v251, v141 quad_perm:[1,1,1,1] row_mask:0xf bank_mask:0xf// 00000000FD28: 0B1B1AFA FF0055FB
	v_mul_f32_dpp v142, v251, v142 quad_perm:[2,2,2,2] row_mask:0xf bank_mask:0xf// 00000000FD30: 0B1D1CFA FF00AAFB
	v_mul_f32_dpp v143, v251, v143 quad_perm:[3,3,3,3] row_mask:0xf bank_mask:0xf// 00000000FD38: 0B1F1EFA FF00FFFB
	s_and_b32 s60, s72, 0xff                                   // 00000000FD40: 863CFF48 000000FF
	v_mov_b32_e32 v42, s60                                     // 00000000FD48: 7E54023C
	v_lshrrev_b32_e32 v240, 4, v0                              // 00000000FD4C: 21E00084
	v_mul_i32_i24_e32 v240, 4, v240                            // 00000000FD50: 0DE1E084
	s_mul_i32 s60, s7, 16                                      // 00000000FD54: 923C9007
	v_add_u32_e32 v240, s60, v240                              // 00000000FD58: 69E1E03C
	v_add_u32_e32 v241, 1, v240                                // 00000000FD5C: 69E3E081
	v_add_u32_e32 v242, 2, v240                                // 00000000FD60: 69E5E082
	v_add_u32_e32 v243, 3, v240                                // 00000000FD64: 69E7E083
	v_mov_b32_e32 v41, 0xff800000                              // 00000000FD68: 7E5202FF FF800000
	v_cmp_lt_u32_e64 s[40:41], v240, v42                       // 00000000FD70: D0C90028 000255F0
	v_add_u32_e32 v240, 64, v240                               // 00000000FD78: 69E1E0C0
	s_nop 0                                                    // 00000000FD7C: BF800000
	v_cndmask_b32_e64 v128, v41, v128, s[40:41]                // 00000000FD80: D1000080 00A30129
	v_cmp_lt_u32_e64 s[40:41], v241, v42                       // 00000000FD88: D0C90028 000255F1
	v_add_u32_e32 v241, 64, v241                               // 00000000FD90: 69E3E2C0
	s_nop 0                                                    // 00000000FD94: BF800000
	v_cndmask_b32_e64 v129, v41, v129, s[40:41]                // 00000000FD98: D1000081 00A30329
	v_cmp_lt_u32_e64 s[40:41], v242, v42                       // 00000000FDA0: D0C90028 000255F2
	v_add_u32_e32 v242, 64, v242                               // 00000000FDA8: 69E5E4C0
	s_nop 0                                                    // 00000000FDAC: BF800000
	v_cndmask_b32_e64 v130, v41, v130, s[40:41]                // 00000000FDB0: D1000082 00A30529
	v_cmp_lt_u32_e64 s[40:41], v243, v42                       // 00000000FDB8: D0C90028 000255F3
	v_add_u32_e32 v243, 64, v243                               // 00000000FDC0: 69E7E6C0
	s_nop 0                                                    // 00000000FDC4: BF800000
	v_cndmask_b32_e64 v131, v41, v131, s[40:41]                // 00000000FDC8: D1000083 00A30729
	v_cmp_lt_u32_e64 s[40:41], v240, v42                       // 00000000FDD0: D0C90028 000255F0
	v_add_u32_e32 v240, 64, v240                               // 00000000FDD8: 69E1E0C0
	s_nop 0                                                    // 00000000FDDC: BF800000
	v_cndmask_b32_e64 v132, v41, v132, s[40:41]                // 00000000FDE0: D1000084 00A30929
	v_cmp_lt_u32_e64 s[40:41], v241, v42                       // 00000000FDE8: D0C90028 000255F1
	v_add_u32_e32 v241, 64, v241                               // 00000000FDF0: 69E3E2C0
	s_nop 0                                                    // 00000000FDF4: BF800000
	v_cndmask_b32_e64 v133, v41, v133, s[40:41]                // 00000000FDF8: D1000085 00A30B29
	v_cmp_lt_u32_e64 s[40:41], v242, v42                       // 00000000FE00: D0C90028 000255F2
	v_add_u32_e32 v242, 64, v242                               // 00000000FE08: 69E5E4C0
	s_nop 0                                                    // 00000000FE0C: BF800000
	v_cndmask_b32_e64 v134, v41, v134, s[40:41]                // 00000000FE10: D1000086 00A30D29
	v_cmp_lt_u32_e64 s[40:41], v243, v42                       // 00000000FE18: D0C90028 000255F3
	v_add_u32_e32 v243, 64, v243                               // 00000000FE20: 69E7E6C0
	s_nop 0                                                    // 00000000FE24: BF800000
	v_cndmask_b32_e64 v135, v41, v135, s[40:41]                // 00000000FE28: D1000087 00A30F29
	v_cmp_lt_u32_e64 s[40:41], v240, v42                       // 00000000FE30: D0C90028 000255F0
	v_add_u32_e32 v240, 64, v240                               // 00000000FE38: 69E1E0C0
	s_nop 0                                                    // 00000000FE3C: BF800000
	v_cndmask_b32_e64 v136, v41, v136, s[40:41]                // 00000000FE40: D1000088 00A31129
	v_cmp_lt_u32_e64 s[40:41], v241, v42                       // 00000000FE48: D0C90028 000255F1
	v_add_u32_e32 v241, 64, v241                               // 00000000FE50: 69E3E2C0
	s_nop 0                                                    // 00000000FE54: BF800000
	v_cndmask_b32_e64 v137, v41, v137, s[40:41]                // 00000000FE58: D1000089 00A31329
	v_cmp_lt_u32_e64 s[40:41], v242, v42                       // 00000000FE60: D0C90028 000255F2
	v_add_u32_e32 v242, 64, v242                               // 00000000FE68: 69E5E4C0
	s_nop 0                                                    // 00000000FE6C: BF800000
	v_cndmask_b32_e64 v138, v41, v138, s[40:41]                // 00000000FE70: D100008A 00A31529
	v_cmp_lt_u32_e64 s[40:41], v243, v42                       // 00000000FE78: D0C90028 000255F3
	v_add_u32_e32 v243, 64, v243                               // 00000000FE80: 69E7E6C0
	s_nop 0                                                    // 00000000FE84: BF800000
	v_cndmask_b32_e64 v139, v41, v139, s[40:41]                // 00000000FE88: D100008B 00A31729
	v_cmp_lt_u32_e64 s[40:41], v240, v42                       // 00000000FE90: D0C90028 000255F0
	v_add_u32_e32 v240, 64, v240                               // 00000000FE98: 69E1E0C0
	s_nop 0                                                    // 00000000FE9C: BF800000
	v_cndmask_b32_e64 v140, v41, v140, s[40:41]                // 00000000FEA0: D100008C 00A31929
	v_cmp_lt_u32_e64 s[40:41], v241, v42                       // 00000000FEA8: D0C90028 000255F1
	v_add_u32_e32 v241, 64, v241                               // 00000000FEB0: 69E3E2C0
	s_nop 0                                                    // 00000000FEB4: BF800000
	v_cndmask_b32_e64 v141, v41, v141, s[40:41]                // 00000000FEB8: D100008D 00A31B29
	v_cmp_lt_u32_e64 s[40:41], v242, v42                       // 00000000FEC0: D0C90028 000255F2
	v_add_u32_e32 v242, 64, v242                               // 00000000FEC8: 69E5E4C0
	s_nop 0                                                    // 00000000FECC: BF800000
	v_cndmask_b32_e64 v142, v41, v142, s[40:41]                // 00000000FED0: D100008E 00A31D29
	v_cmp_lt_u32_e64 s[40:41], v243, v42                       // 00000000FED8: D0C90028 000255F3
	v_add_u32_e32 v243, 64, v243                               // 00000000FEE0: 69E7E6C0
	s_nop 0                                                    // 00000000FEE4: BF800000
	v_cndmask_b32_e64 v143, v41, v143, s[40:41]                // 00000000FEE8: D100008F 00A31F29
	v_mov_b32_e32 v62, v128                                    // 00000000FEF0: 7E7C0380
	v_max3_f32 v62, v128, v129, v62                            // 00000000FEF4: D1D3003E 04FB0380
	v_max3_f32 v62, v130, v131, v62                            // 00000000FEFC: D1D3003E 04FB0782
	v_max3_f32 v62, v132, v133, v62                            // 00000000FF04: D1D3003E 04FB0B84
	v_max3_f32 v62, v134, v135, v62                            // 00000000FF0C: D1D3003E 04FB0F86
	v_max3_f32 v62, v136, v137, v62                            // 00000000FF14: D1D3003E 04FB1388
	v_max3_f32 v62, v138, v139, v62                            // 00000000FF1C: D1D3003E 04FB178A
	v_max3_f32 v62, v140, v141, v62                            // 00000000FF24: D1D3003E 04FB1B8C
	v_max3_f32 v62, v142, v143, v62                            // 00000000FF2C: D1D3003E 04FB1F8E
	ds_write_b32 v11, v62 offset:16896                         // 00000000FF34: D81A4200 00003E0B
	v_mul_u32_u24_dpp v41, v19, v68 row_newbcast:1 row_mask:0xf bank_mask:0xf// 00000000FF3C: 105288FA FF015113
	v_mul_u32_u24_dpp v42, v19, v68 row_newbcast:5 row_mask:0xf bank_mask:0xf// 00000000FF44: 105488FA FF015513
	v_mul_u32_u24_dpp v43, v19, v68 row_newbcast:9 row_mask:0xf bank_mask:0xf// 00000000FF4C: 105688FA FF015913
	v_mul_u32_u24_dpp v44, v19, v68 row_newbcast:13 row_mask:0xf bank_mask:0xf// 00000000FF54: 105888FA FF015D13
	v_add_u32_e32 v33, v41, v7                                 // 00000000FF5C: 68420F29
	v_add_u32_e32 v34, v42, v7                                 // 00000000FF60: 68440F2A
	v_add_u32_e32 v35, v43, v7                                 // 00000000FF64: 68460F2B
	v_add_u32_e32 v36, v44, v7                                 // 00000000FF68: 68480F2C
	v_mul_f32_e32 v224, v63, v224                              // 00000000FF6C: 0BC1C13F
	v_mul_f32_e32 v225, v63, v225                              // 00000000FF70: 0BC3C33F
	v_mul_f32_e32 v226, v63, v226                              // 00000000FF74: 0BC5C53F
	v_mul_f32_e32 v227, v63, v227                              // 00000000FF78: 0BC7C73F
	v_mul_f32_e32 v228, v63, v228                              // 00000000FF7C: 0BC9C93F
	v_mul_f32_e32 v229, v63, v229                              // 00000000FF80: 0BCBCB3F
	v_mul_f32_e32 v230, v63, v230                              // 00000000FF84: 0BCDCD3F
	v_mul_f32_e32 v231, v63, v231                              // 00000000FF88: 0BCFCF3F
	s_waitcnt lgkmcnt(0)                                       // 00000000FF8C: BF8CC07F
	s_barrier                                                  // 00000000FF90: BF8A0000
	ds_read_b32 v80, v10 offset:16896                          // 00000000FF94: D86C4200 5000000A
	ds_read_b32 v81, v10 offset:16960                          // 00000000FF9C: D86C4240 5100000A
	ds_read_b32 v82, v10 offset:17024                          // 00000000FFA4: D86C4280 5200000A
	ds_read_b32 v83, v10 offset:17088                          // 00000000FFAC: D86C42C0 5300000A
	ds_read_b32 v84, v10 offset:17152                          // 00000000FFB4: D86C4300 5400000A
	ds_read_b32 v85, v10 offset:17216                          // 00000000FFBC: D86C4340 5500000A
	ds_read_b32 v86, v10 offset:17280                          // 00000000FFC4: D86C4380 5600000A
	ds_read_b32 v87, v10 offset:17344                          // 00000000FFCC: D86C43C0 5700000A
	ds_read_b32 v88, v10 offset:17408                          // 00000000FFD4: D86C4400 5800000A
	ds_read_b32 v89, v10 offset:17472                          // 00000000FFDC: D86C4440 5900000A
	ds_read_b32 v90, v10 offset:17536                          // 00000000FFE4: D86C4480 5A00000A
	ds_read_b32 v91, v10 offset:17600                          // 00000000FFEC: D86C44C0 5B00000A
	ds_read_b32 v92, v10 offset:17664                          // 00000000FFF4: D86C4500 5C00000A
	ds_read_b32 v93, v10 offset:17728                          // 00000000FFFC: D86C4540 5D00000A
	ds_read_b32 v94, v10 offset:17792                          // 000000010004: D86C4580 5E00000A
	ds_read_b32 v95, v10 offset:17856                          // 00000001000C: D86C45C0 5F00000A
	v_mul_f32_e32 v192, v58, v192                              // 000000010014: 0B81813A
	v_mul_f32_e32 v193, v58, v193                              // 000000010018: 0B83833A
	v_mul_f32_e32 v194, v58, v194                              // 00000001001C: 0B85853A
	v_mul_f32_e32 v195, v58, v195                              // 000000010020: 0B87873A
	v_mul_f32_e32 v196, v58, v196                              // 000000010024: 0B89893A
	v_mul_f32_e32 v197, v58, v197                              // 000000010028: 0B8B8B3A
	v_mul_f32_e32 v198, v58, v198                              // 00000001002C: 0B8D8D3A
	v_mul_f32_e32 v199, v58, v199                              // 000000010030: 0B8F8F3A
	s_waitcnt lgkmcnt(0)                                       // 000000010034: BF8CC07F
	v_max3_f32 v62, v80, v81, v62                              // 000000010038: D1D3003E 04FAA350
	v_max3_f32 v62, v82, v83, v62                              // 000000010040: D1D3003E 04FAA752
	v_max3_f32 v62, v84, v85, v62                              // 000000010048: D1D3003E 04FAAB54
	v_max3_f32 v62, v86, v87, v62                              // 000000010050: D1D3003E 04FAAF56
	v_max3_f32 v62, v88, v89, v62                              // 000000010058: D1D3003E 04FAB358
	v_max3_f32 v62, v90, v91, v62                              // 000000010060: D1D3003E 04FAB75A
	v_max3_f32 v62, v92, v93, v62                              // 000000010068: D1D3003E 04FABB5C
	v_max3_f32 v62, v94, v95, v62                              // 000000010070: D1D3003E 04FABF5E
	v_mov_b32_e32 v41, 0xff800000                              // 000000010078: 7E5202FF FF800000
	v_cmp_eq_u32_e64 s[40:41], v41, v14                        // 000000010080: D0CA0028 00021D29
	s_nop 1                                                    // 000000010088: BF800001
	v_max_f32_e32 v18, v62, v14                                // 00000001008C: 16241D3E
	v_mul_f32_e32 v67, s64, v18                                // 000000010090: 0A862440
	v_fma_f32 v128, v128, s64, -v67                            // 000000010094: D1CB0080 850C8180
	v_fma_f32 v129, v129, s64, -v67                            // 00000001009C: D1CB0081 850C8181
	v_fma_f32 v130, v130, s64, -v67                            // 0000000100A4: D1CB0082 850C8182
	v_fma_f32 v131, v131, s64, -v67                            // 0000000100AC: D1CB0083 850C8183
	v_fma_f32 v132, v132, s64, -v67                            // 0000000100B4: D1CB0084 850C8184
	v_fma_f32 v133, v133, s64, -v67                            // 0000000100BC: D1CB0085 850C8185
	v_fma_f32 v134, v134, s64, -v67                            // 0000000100C4: D1CB0086 850C8186
	v_fma_f32 v135, v135, s64, -v67                            // 0000000100CC: D1CB0087 850C8187
	v_fma_f32 v136, v136, s64, -v67                            // 0000000100D4: D1CB0088 850C8188
	v_fma_f32 v137, v137, s64, -v67                            // 0000000100DC: D1CB0089 850C8189
	v_fma_f32 v138, v138, s64, -v67                            // 0000000100E4: D1CB008A 850C818A
	v_fma_f32 v139, v139, s64, -v67                            // 0000000100EC: D1CB008B 850C818B
	v_fma_f32 v140, v140, s64, -v67                            // 0000000100F4: D1CB008C 850C818C
	v_fma_f32 v141, v141, s64, -v67                            // 0000000100FC: D1CB008D 850C818D
	v_fma_f32 v142, v142, s64, -v67                            // 000000010104: D1CB008E 850C818E
	v_fma_f32 v143, v143, s64, -v67                            // 00000001010C: D1CB008F 850C818F
	v_exp_f32_e32 v128, v128                                   // 000000010114: 7F004180
	v_exp_f32_e32 v129, v129                                   // 000000010118: 7F024181
	v_exp_f32_e32 v130, v130                                   // 00000001011C: 7F044182
	v_exp_f32_e32 v131, v131                                   // 000000010120: 7F064183
	v_exp_f32_e32 v132, v132                                   // 000000010124: 7F084184
	v_exp_f32_e32 v133, v133                                   // 000000010128: 7F0A4185
	v_exp_f32_e32 v134, v134                                   // 00000001012C: 7F0C4186
	v_exp_f32_e32 v135, v135                                   // 000000010130: 7F0E4187
	v_exp_f32_e32 v136, v136                                   // 000000010134: 7F104188
	v_exp_f32_e32 v137, v137                                   // 000000010138: 7F124189
	v_exp_f32_e32 v138, v138                                   // 00000001013C: 7F14418A
	v_exp_f32_e32 v139, v139                                   // 000000010140: 7F16418B
	v_exp_f32_e32 v140, v140                                   // 000000010144: 7F18418C
	v_exp_f32_e32 v141, v141                                   // 000000010148: 7F1A418D
	v_exp_f32_e32 v142, v142                                   // 00000001014C: 7F1C418E
	v_exp_f32_e32 v143, v143                                   // 000000010150: 7F1E418F
	v_mul_f32_dpp v240, v252, v128 quad_perm:[0,0,0,0] row_mask:0xf bank_mask:0xf// 000000010154: 0BE100FA FF0000FC
	v_mul_f32_dpp v241, v252, v129 quad_perm:[1,1,1,1] row_mask:0xf bank_mask:0xf// 00000001015C: 0BE302FA FF0055FC
	v_mul_f32_dpp v242, v252, v130 quad_perm:[2,2,2,2] row_mask:0xf bank_mask:0xf// 000000010164: 0BE504FA FF00AAFC
	v_mul_f32_dpp v243, v252, v131 quad_perm:[3,3,3,3] row_mask:0xf bank_mask:0xf// 00000001016C: 0BE706FA FF00FFFC
	v_mul_f32_dpp v244, v253, v132 quad_perm:[0,0,0,0] row_mask:0xf bank_mask:0xf// 000000010174: 0BE908FA FF0000FD
	v_mul_f32_dpp v245, v253, v133 quad_perm:[1,1,1,1] row_mask:0xf bank_mask:0xf// 00000001017C: 0BEB0AFA FF0055FD
	v_mul_f32_dpp v246, v253, v134 quad_perm:[2,2,2,2] row_mask:0xf bank_mask:0xf// 000000010184: 0BED0CFA FF00AAFD
	v_mul_f32_dpp v247, v253, v135 quad_perm:[3,3,3,3] row_mask:0xf bank_mask:0xf// 00000001018C: 0BEF0EFA FF00FFFD
	v_mul_f32_dpp v248, v254, v136 quad_perm:[0,0,0,0] row_mask:0xf bank_mask:0xf// 000000010194: 0BF110FA FF0000FE
	v_mul_f32_dpp v249, v254, v137 quad_perm:[1,1,1,1] row_mask:0xf bank_mask:0xf// 00000001019C: 0BF312FA FF0055FE
	v_mul_f32_dpp v250, v254, v138 quad_perm:[2,2,2,2] row_mask:0xf bank_mask:0xf// 0000000101A4: 0BF514FA FF00AAFE
	v_mul_f32_dpp v251, v254, v139 quad_perm:[3,3,3,3] row_mask:0xf bank_mask:0xf// 0000000101AC: 0BF716FA FF00FFFE
	v_mul_f32_dpp v252, v255, v140 quad_perm:[0,0,0,0] row_mask:0xf bank_mask:0xf// 0000000101B4: 0BF918FA FF0000FF
	v_mul_f32_dpp v253, v255, v141 quad_perm:[1,1,1,1] row_mask:0xf bank_mask:0xf// 0000000101BC: 0BFB1AFA FF0055FF
	v_mul_f32_dpp v254, v255, v142 quad_perm:[2,2,2,2] row_mask:0xf bank_mask:0xf// 0000000101C4: 0BFD1CFA FF00AAFF
	v_mul_f32_dpp v255, v255, v143 quad_perm:[3,3,3,3] row_mask:0xf bank_mask:0xf// 0000000101CC: 0BFF1EFA FF00FFFF
	v_mov_b32_e32 v62, 0x358637bd                              // 0000000101D4: 7E7C02FF 358637BD
	v_max3_f32 v62, |v240|, |v241|, v62                        // 0000000101DC: D1D3033E 04FBE3F0
	v_max3_f32 v62, |v242|, |v243|, v62                        // 0000000101E4: D1D3033E 04FBE7F2
	v_max3_f32 v62, |v244|, |v245|, v62                        // 0000000101EC: D1D3033E 04FBEBF4
	v_max3_f32 v62, |v246|, |v247|, v62                        // 0000000101F4: D1D3033E 04FBEFF6
	v_max3_f32 v62, |v248|, |v249|, v62                        // 0000000101FC: D1D3033E 04FBF3F8
	v_max3_f32 v62, |v250|, |v251|, v62                        // 000000010204: D1D3033E 04FBF7FA
	v_max3_f32 v62, |v252|, |v253|, v62                        // 00000001020C: D1D3033E 04FBFBFC
	v_max3_f32 v62, |v254|, |v255|, v62                        // 000000010214: D1D3033E 04FBFFFE
	ds_write_b32 v11, v62 offset:20992                         // 00000001021C: D81A5200 00003E0B
	v_sub_f32_e32 v63, v14, v18                                // 000000010224: 047E250E
	v_cndmask_b32_e64 v63, v63, 0, s[40:41]                    // 000000010228: D100003F 00A1013F
	v_mov_b32_e32 v14, v18                                     // 000000010230: 7E1C0312
	v_mul_f32_e32 v63, s64, v63                                // 000000010234: 0A7E7E40
	v_exp_f32_e32 v63, v63                                     // 000000010238: 7E7E413F
	s_waitcnt lgkmcnt(0)                                       // 00000001023C: BF8CC07F
	s_barrier                                                  // 000000010240: BF8A0000
	ds_read_b32 v80, v10 offset:20992                          // 000000010244: D86C5200 5000000A
	ds_read_b32 v81, v10 offset:21056                          // 00000001024C: D86C5240 5100000A
	ds_read_b32 v82, v10 offset:21120                          // 000000010254: D86C5280 5200000A
	ds_read_b32 v83, v10 offset:21184                          // 00000001025C: D86C52C0 5300000A
	ds_read_b32 v84, v10 offset:21248                          // 000000010264: D86C5300 5400000A
	ds_read_b32 v85, v10 offset:21312                          // 00000001026C: D86C5340 5500000A
	ds_read_b32 v86, v10 offset:21376                          // 000000010274: D86C5380 5600000A
	ds_read_b32 v87, v10 offset:21440                          // 00000001027C: D86C53C0 5700000A
	ds_read_b32 v88, v10 offset:21504                          // 000000010284: D86C5400 5800000A
	ds_read_b32 v89, v10 offset:21568                          // 00000001028C: D86C5440 5900000A
	ds_read_b32 v90, v10 offset:21632                          // 000000010294: D86C5480 5A00000A
	ds_read_b32 v91, v10 offset:21696                          // 00000001029C: D86C54C0 5B00000A
	ds_read_b32 v92, v10 offset:21760                          // 0000000102A4: D86C5500 5C00000A
	ds_read_b32 v93, v10 offset:21824                          // 0000000102AC: D86C5540 5D00000A
	ds_read_b32 v94, v10 offset:21888                          // 0000000102B4: D86C5580 5E00000A
	ds_read_b32 v95, v10 offset:21952                          // 0000000102BC: D86C55C0 5F00000A
	v_mul_f32_e32 v47, v63, v47                                // 0000000102C4: 0A5E5F3F
	v_mov_b32_e32 v18, v128                                    // 0000000102C8: 7E240380
	v_add_f32_e32 v18, v129, v18                               // 0000000102CC: 02242581
	v_add_f32_e32 v18, v130, v18                               // 0000000102D0: 02242582
	v_add_f32_e32 v18, v131, v18                               // 0000000102D4: 02242583
	v_add_f32_e32 v18, v132, v18                               // 0000000102D8: 02242584
	v_add_f32_e32 v18, v133, v18                               // 0000000102DC: 02242585
	v_add_f32_e32 v18, v134, v18                               // 0000000102E0: 02242586
	v_add_f32_e32 v18, v135, v18                               // 0000000102E4: 02242587
	v_add_f32_e32 v18, v136, v18                               // 0000000102E8: 02242588
	v_add_f32_e32 v18, v137, v18                               // 0000000102EC: 02242589
	v_add_f32_e32 v18, v138, v18                               // 0000000102F0: 0224258A
	v_add_f32_e32 v18, v139, v18                               // 0000000102F4: 0224258B
	v_add_f32_e32 v18, v140, v18                               // 0000000102F8: 0224258C
	v_add_f32_e32 v18, v141, v18                               // 0000000102FC: 0224258D
	v_add_f32_e32 v18, v142, v18                               // 000000010300: 0224258E
	v_add_f32_e32 v18, v143, v18                               // 000000010304: 0224258F
	v_add_f32_e32 v47, v18, v47                                // 000000010308: 025E5F12
	s_waitcnt lgkmcnt(0)                                       // 00000001030C: BF8CC07F
	v_max3_f32 v62, |v80|, |v81|, v62                          // 000000010310: D1D3033E 04FAA350
	v_max3_f32 v62, |v82|, |v83|, v62                          // 000000010318: D1D3033E 04FAA752
	v_max3_f32 v62, |v84|, |v85|, v62                          // 000000010320: D1D3033E 04FAAB54
	v_max3_f32 v62, |v86|, |v87|, v62                          // 000000010328: D1D3033E 04FAAF56
	v_max3_f32 v62, |v88|, |v89|, v62                          // 000000010330: D1D3033E 04FAB358
	v_max3_f32 v62, |v90|, |v91|, v62                          // 000000010338: D1D3033E 04FAB75A
	v_max3_f32 v62, |v92|, |v93|, v62                          // 000000010340: D1D3033E 04FABB5C
	v_max3_f32 v62, |v94|, |v95|, v62                          // 000000010348: D1D3033E 04FABF5E
	s_nop 2                                                    // 000000010350: BF800002
	v_rcp_f32_e32 v62, v62                                     // 000000010354: 7E7C453E
	s_nop 1                                                    // 000000010358: BF800001
	v_mul_f32_e32 v62, 0x43700000, v62                         // 00000001035C: 0A7C7CFF 43700000
	v_mul_f32_e32 v128, v62, v240                              // 000000010364: 0B01E13E
	v_mul_f32_e32 v129, v62, v241                              // 000000010368: 0B03E33E
	v_mul_f32_e32 v130, v62, v242                              // 00000001036C: 0B05E53E
	v_mul_f32_e32 v131, v62, v243                              // 000000010370: 0B07E73E
	v_mul_f32_e32 v132, v62, v244                              // 000000010374: 0B09E93E
	v_mul_f32_e32 v133, v62, v245                              // 000000010378: 0B0BEB3E
	v_mul_f32_e32 v134, v62, v246                              // 00000001037C: 0B0DED3E
	v_mul_f32_e32 v135, v62, v247                              // 000000010380: 0B0FEF3E
	v_mul_f32_e32 v136, v62, v248                              // 000000010384: 0B11F13E
	v_mul_f32_e32 v137, v62, v249                              // 000000010388: 0B13F33E
	v_mul_f32_e32 v138, v62, v250                              // 00000001038C: 0B15F53E
	v_mul_f32_e32 v139, v62, v251                              // 000000010390: 0B17F73E
	v_mul_f32_e32 v140, v62, v252                              // 000000010394: 0B19F93E
	v_mul_f32_e32 v141, v62, v253                              // 000000010398: 0B1BFB3E
	v_mul_f32_e32 v142, v62, v254                              // 00000001039C: 0B1DFD3E
	v_mul_f32_e32 v143, v62, v255                              // 0000000103A0: 0B1FFF3E
	v_cvt_pk_fp8_f32 v128, v128, v129                          // 0000000103A4: D2A20080 00030380
	v_cvt_pk_fp8_f32 v128, v130, v131 op_sel:[0,0,1]           // 0000000103AC: D2A24080 00030782
	v_cvt_pk_fp8_f32 v129, v132, v133                          // 0000000103B4: D2A20081 00030B84
	v_cvt_pk_fp8_f32 v129, v134, v135 op_sel:[0,0,1]           // 0000000103BC: D2A24081 00030F86
	v_cvt_pk_fp8_f32 v130, v136, v137                          // 0000000103C4: D2A20082 00031388
	v_cvt_pk_fp8_f32 v130, v138, v139 op_sel:[0,0,1]           // 0000000103CC: D2A24082 0003178A
	v_cvt_pk_fp8_f32 v131, v140, v141                          // 0000000103D4: D2A20083 00031B8C
	v_cvt_pk_fp8_f32 v131, v142, v143 op_sel:[0,0,1]           // 0000000103DC: D2A24083 00031F8E
	ds_write_b32 v13, v128 offset:25088                        // 0000000103E4: D81A6200 0000800D
	ds_write_b32 v13, v129 offset:26112                        // 0000000103EC: D81A6600 0000810D
	ds_write_b32 v13, v130 offset:27136                        // 0000000103F4: D81A6A00 0000820D
	ds_write_b32 v13, v131 offset:28160                        // 0000000103FC: D81A6E00 0000830D
	v_add_f32_e32 v224, v224, v192                             // 000000010404: 03C181E0
	v_add_f32_e32 v225, v225, v193                             // 000000010408: 03C383E1
	v_add_f32_e32 v226, v226, v194                             // 00000001040C: 03C585E2
	v_add_f32_e32 v227, v227, v195                             // 000000010410: 03C787E3
	v_add_f32_e32 v228, v228, v196                             // 000000010414: 03C989E4
	v_add_f32_e32 v229, v229, v197                             // 000000010418: 03CB8BE5
	v_add_f32_e32 v230, v230, v198                             // 00000001041C: 03CD8DE6
	v_add_f32_e32 v231, v231, v199                             // 000000010420: 03CF8FE7
	v_rcp_f32_e32 v58, v62                                     // 000000010424: 7E74453E
	s_waitcnt lgkmcnt(0)                                       // 000000010428: BF8CC07F
	s_barrier                                                  // 00000001042C: BF8A0000
	ds_read_b64 v[128:129], v12 offset:25088                   // 000000010430: D8EC6200 8000000C
	ds_read_b64 v[130:131], v12 offset:25216                   // 000000010438: D8EC6280 8200000C
	ds_read_b64 v[132:133], v12 offset:26112                   // 000000010440: D8EC6600 8400000C
	ds_read_b64 v[134:135], v12 offset:26240                   // 000000010448: D8EC6680 8600000C
	ds_read_b64 v[136:137], v12 offset:27136                   // 000000010450: D8EC6A00 8800000C
	ds_read_b64 v[138:139], v12 offset:27264                   // 000000010458: D8EC6A80 8A00000C
	ds_read_b64 v[140:141], v12 offset:28160                   // 000000010460: D8EC6E00 8C00000C
	ds_read_b64 v[142:143], v12 offset:28288                   // 000000010468: D8EC6E80 8E00000C
	v_mov_b32_dpp v41, v53 row_shr:4 row_mask:0xf bank_mask:0xf// 000000010470: 7E5202FA FF011435
	v_mov_b32_dpp v42, v53 row_shl:4 row_mask:0xf bank_mask:0xf// 000000010478: 7E5402FA FF010435
	v_cndmask_b32_e64 v248, v53, v41, s[44:45]                 // 000000010480: D10000F8 00B25335
	v_cndmask_b32_e64 v249, v42, v53, s[44:45]                 // 000000010488: D10000F9 00B26B2A
	v_mov_b32_dpp v41, v248 row_shr:8 row_mask:0xf bank_mask:0xf// 000000010490: 7E5202FA FF0118F8
	v_mov_b32_dpp v42, v248 row_shl:8 row_mask:0xf bank_mask:0xf// 000000010498: 7E5402FA FF0108F8
	v_mov_b32_dpp v43, v249 row_shr:8 row_mask:0xf bank_mask:0xf// 0000000104A0: 7E5602FA FF0118F9
	v_mov_b32_dpp v44, v249 row_shl:8 row_mask:0xf bank_mask:0xf// 0000000104A8: 7E5802FA FF0108F9
	v_mov_b32_e32 v45, v248                                    // 0000000104B0: 7E5A03F8
	v_mov_b32_e32 v46, v249                                    // 0000000104B4: 7E5C03F9
	v_cndmask_b32_e64 v248, v45, v41, s[42:43]                 // 0000000104B8: D10000F8 00AA532D
	v_cndmask_b32_e64 v250, v45, v42, s[78:79]                 // 0000000104C0: D10000FA 013A552D
	v_cndmask_b32_e64 v249, v46, v43, s[42:43]                 // 0000000104C8: D10000F9 00AA572E
	v_cndmask_b32_e64 v251, v46, v44, s[78:79]                 // 0000000104D0: D10000FB 013A592E
	v_mov_b32_dpp v41, v73 row_shr:4 row_mask:0xf bank_mask:0xf// 0000000104D8: 7E5202FA FF011449
	v_mov_b32_dpp v42, v73 row_shl:4 row_mask:0xf bank_mask:0xf// 0000000104E0: 7E5402FA FF010449
	v_cndmask_b32_e64 v252, v73, v41, s[44:45]                 // 0000000104E8: D10000FC 00B25349
	v_cndmask_b32_e64 v253, v42, v73, s[44:45]                 // 0000000104F0: D10000FD 00B2932A
	v_mov_b32_dpp v41, v252 row_shr:8 row_mask:0xf bank_mask:0xf// 0000000104F8: 7E5202FA FF0118FC
	v_mov_b32_dpp v42, v252 row_shl:8 row_mask:0xf bank_mask:0xf// 000000010500: 7E5402FA FF0108FC
	v_mov_b32_dpp v43, v253 row_shr:8 row_mask:0xf bank_mask:0xf// 000000010508: 7E5602FA FF0118FD
	v_mov_b32_dpp v44, v253 row_shl:8 row_mask:0xf bank_mask:0xf// 000000010510: 7E5802FA FF0108FD
	v_mov_b32_e32 v45, v252                                    // 000000010518: 7E5A03FC
	v_mov_b32_e32 v46, v253                                    // 00000001051C: 7E5C03FD
	v_cndmask_b32_e64 v252, v45, v41, s[42:43]                 // 000000010520: D10000FC 00AA532D
	v_cndmask_b32_e64 v254, v45, v42, s[78:79]                 // 000000010528: D10000FE 013A552D
	v_cndmask_b32_e64 v253, v46, v43, s[42:43]                 // 000000010530: D10000FD 00AA572E
	v_cndmask_b32_e64 v255, v46, v44, s[78:79]                 // 000000010538: D10000FF 013A592E
	v_mul_f32_e32 v144, v55, v144                              // 000000010540: 0B212137
	v_mul_f32_e32 v145, v55, v145                              // 000000010544: 0B232337
	v_mul_f32_e32 v146, v55, v146                              // 000000010548: 0B252537
	v_mul_f32_e32 v147, v55, v147                              // 00000001054C: 0B272737
	v_mul_f32_e32 v148, v55, v148                              // 000000010550: 0B292937
	v_mul_f32_e32 v149, v55, v149                              // 000000010554: 0B2B2B37
	v_mul_f32_e32 v150, v55, v150                              // 000000010558: 0B2D2D37
	v_mul_f32_e32 v151, v55, v151                              // 00000001055C: 0B2F2F37
	v_mul_f32_e32 v152, v55, v152                              // 000000010560: 0B313137
	v_mul_f32_e32 v153, v55, v153                              // 000000010564: 0B333337
	v_mul_f32_e32 v154, v55, v154                              // 000000010568: 0B353537
	v_mul_f32_e32 v155, v55, v155                              // 00000001056C: 0B373737
	v_mul_f32_e32 v156, v55, v156                              // 000000010570: 0B393937
	v_mul_f32_e32 v157, v55, v157                              // 000000010574: 0B3B3B37
	v_mul_f32_e32 v158, v55, v158                              // 000000010578: 0B3D3D37
	v_mul_f32_e32 v159, v55, v159                              // 00000001057C: 0B3F3F37
	v_mul_f32_dpp v144, v248, v144 quad_perm:[0,0,0,0] row_mask:0xf bank_mask:0xf// 000000010580: 0B2120FA FF0000F8
	v_mul_f32_dpp v145, v248, v145 quad_perm:[1,1,1,1] row_mask:0xf bank_mask:0xf// 000000010588: 0B2322FA FF0055F8
	v_mul_f32_dpp v146, v248, v146 quad_perm:[2,2,2,2] row_mask:0xf bank_mask:0xf// 000000010590: 0B2524FA FF00AAF8
	v_mul_f32_dpp v147, v248, v147 quad_perm:[3,3,3,3] row_mask:0xf bank_mask:0xf// 000000010598: 0B2726FA FF00FFF8
	v_mul_f32_dpp v148, v249, v148 quad_perm:[0,0,0,0] row_mask:0xf bank_mask:0xf// 0000000105A0: 0B2928FA FF0000F9
	v_mul_f32_dpp v149, v249, v149 quad_perm:[1,1,1,1] row_mask:0xf bank_mask:0xf// 0000000105A8: 0B2B2AFA FF0055F9
	v_mul_f32_dpp v150, v249, v150 quad_perm:[2,2,2,2] row_mask:0xf bank_mask:0xf// 0000000105B0: 0B2D2CFA FF00AAF9
	v_mul_f32_dpp v151, v249, v151 quad_perm:[3,3,3,3] row_mask:0xf bank_mask:0xf// 0000000105B8: 0B2F2EFA FF00FFF9
	v_mul_f32_dpp v152, v250, v152 quad_perm:[0,0,0,0] row_mask:0xf bank_mask:0xf// 0000000105C0: 0B3130FA FF0000FA
	v_mul_f32_dpp v153, v250, v153 quad_perm:[1,1,1,1] row_mask:0xf bank_mask:0xf// 0000000105C8: 0B3332FA FF0055FA
	v_mul_f32_dpp v154, v250, v154 quad_perm:[2,2,2,2] row_mask:0xf bank_mask:0xf// 0000000105D0: 0B3534FA FF00AAFA
	v_mul_f32_dpp v155, v250, v155 quad_perm:[3,3,3,3] row_mask:0xf bank_mask:0xf// 0000000105D8: 0B3736FA FF00FFFA
	v_mul_f32_dpp v156, v251, v156 quad_perm:[0,0,0,0] row_mask:0xf bank_mask:0xf// 0000000105E0: 0B3938FA FF0000FB
	v_mul_f32_dpp v157, v251, v157 quad_perm:[1,1,1,1] row_mask:0xf bank_mask:0xf// 0000000105E8: 0B3B3AFA FF0055FB
	v_mul_f32_dpp v158, v251, v158 quad_perm:[2,2,2,2] row_mask:0xf bank_mask:0xf// 0000000105F0: 0B3D3CFA FF00AAFB
	v_mul_f32_dpp v159, v251, v159 quad_perm:[3,3,3,3] row_mask:0xf bank_mask:0xf// 0000000105F8: 0B3F3EFA FF00FFFB
	s_and_b32 s60, s72, 0xff                                   // 000000010600: 863CFF48 000000FF
	v_mov_b32_e32 v42, s60                                     // 000000010608: 7E54023C
	v_lshrrev_b32_e32 v240, 4, v0                              // 00000001060C: 21E00084
	v_mul_i32_i24_e32 v240, 4, v240                            // 000000010610: 0DE1E084
	s_mul_i32 s60, s7, 16                                      // 000000010614: 923C9007
	v_add_u32_e32 v240, s60, v240                              // 000000010618: 69E1E03C
	v_add_u32_e32 v241, 1, v240                                // 00000001061C: 69E3E081
	v_add_u32_e32 v242, 2, v240                                // 000000010620: 69E5E082
	v_add_u32_e32 v243, 3, v240                                // 000000010624: 69E7E083
	v_mov_b32_e32 v41, 0xff800000                              // 000000010628: 7E5202FF FF800000
	v_cmp_lt_u32_e64 s[40:41], v240, v42                       // 000000010630: D0C90028 000255F0
	v_add_u32_e32 v240, 64, v240                               // 000000010638: 69E1E0C0
	s_nop 0                                                    // 00000001063C: BF800000
	v_cndmask_b32_e64 v144, v41, v144, s[40:41]                // 000000010640: D1000090 00A32129
	v_cmp_lt_u32_e64 s[40:41], v241, v42                       // 000000010648: D0C90028 000255F1
	v_add_u32_e32 v241, 64, v241                               // 000000010650: 69E3E2C0
	s_nop 0                                                    // 000000010654: BF800000
	v_cndmask_b32_e64 v145, v41, v145, s[40:41]                // 000000010658: D1000091 00A32329
	v_cmp_lt_u32_e64 s[40:41], v242, v42                       // 000000010660: D0C90028 000255F2
	v_add_u32_e32 v242, 64, v242                               // 000000010668: 69E5E4C0
	s_nop 0                                                    // 00000001066C: BF800000
	v_cndmask_b32_e64 v146, v41, v146, s[40:41]                // 000000010670: D1000092 00A32529
	v_cmp_lt_u32_e64 s[40:41], v243, v42                       // 000000010678: D0C90028 000255F3
	v_add_u32_e32 v243, 64, v243                               // 000000010680: 69E7E6C0
	s_nop 0                                                    // 000000010684: BF800000
	v_cndmask_b32_e64 v147, v41, v147, s[40:41]                // 000000010688: D1000093 00A32729
	v_cmp_lt_u32_e64 s[40:41], v240, v42                       // 000000010690: D0C90028 000255F0
	v_add_u32_e32 v240, 64, v240                               // 000000010698: 69E1E0C0
	s_nop 0                                                    // 00000001069C: BF800000
	v_cndmask_b32_e64 v148, v41, v148, s[40:41]                // 0000000106A0: D1000094 00A32929
	v_cmp_lt_u32_e64 s[40:41], v241, v42                       // 0000000106A8: D0C90028 000255F1
	v_add_u32_e32 v241, 64, v241                               // 0000000106B0: 69E3E2C0
	s_nop 0                                                    // 0000000106B4: BF800000
	v_cndmask_b32_e64 v149, v41, v149, s[40:41]                // 0000000106B8: D1000095 00A32B29
	v_cmp_lt_u32_e64 s[40:41], v242, v42                       // 0000000106C0: D0C90028 000255F2
	v_add_u32_e32 v242, 64, v242                               // 0000000106C8: 69E5E4C0
	s_nop 0                                                    // 0000000106CC: BF800000
	v_cndmask_b32_e64 v150, v41, v150, s[40:41]                // 0000000106D0: D1000096 00A32D29
	v_cmp_lt_u32_e64 s[40:41], v243, v42                       // 0000000106D8: D0C90028 000255F3
	v_add_u32_e32 v243, 64, v243                               // 0000000106E0: 69E7E6C0
	s_nop 0                                                    // 0000000106E4: BF800000
	v_cndmask_b32_e64 v151, v41, v151, s[40:41]                // 0000000106E8: D1000097 00A32F29
	v_cmp_lt_u32_e64 s[40:41], v240, v42                       // 0000000106F0: D0C90028 000255F0
	v_add_u32_e32 v240, 64, v240                               // 0000000106F8: 69E1E0C0
	s_nop 0                                                    // 0000000106FC: BF800000
	v_cndmask_b32_e64 v152, v41, v152, s[40:41]                // 000000010700: D1000098 00A33129
	v_cmp_lt_u32_e64 s[40:41], v241, v42                       // 000000010708: D0C90028 000255F1
	v_add_u32_e32 v241, 64, v241                               // 000000010710: 69E3E2C0
	s_nop 0                                                    // 000000010714: BF800000
	v_cndmask_b32_e64 v153, v41, v153, s[40:41]                // 000000010718: D1000099 00A33329
	v_cmp_lt_u32_e64 s[40:41], v242, v42                       // 000000010720: D0C90028 000255F2
	v_add_u32_e32 v242, 64, v242                               // 000000010728: 69E5E4C0
	s_nop 0                                                    // 00000001072C: BF800000
	v_cndmask_b32_e64 v154, v41, v154, s[40:41]                // 000000010730: D100009A 00A33529
	v_cmp_lt_u32_e64 s[40:41], v243, v42                       // 000000010738: D0C90028 000255F3
	v_add_u32_e32 v243, 64, v243                               // 000000010740: 69E7E6C0
	s_nop 0                                                    // 000000010744: BF800000
	v_cndmask_b32_e64 v155, v41, v155, s[40:41]                // 000000010748: D100009B 00A33729
	v_cmp_lt_u32_e64 s[40:41], v240, v42                       // 000000010750: D0C90028 000255F0
	v_add_u32_e32 v240, 64, v240                               // 000000010758: 69E1E0C0
	s_nop 0                                                    // 00000001075C: BF800000
	v_cndmask_b32_e64 v156, v41, v156, s[40:41]                // 000000010760: D100009C 00A33929
	v_cmp_lt_u32_e64 s[40:41], v241, v42                       // 000000010768: D0C90028 000255F1
	v_add_u32_e32 v241, 64, v241                               // 000000010770: 69E3E2C0
	s_nop 0                                                    // 000000010774: BF800000
	v_cndmask_b32_e64 v157, v41, v157, s[40:41]                // 000000010778: D100009D 00A33B29
	v_cmp_lt_u32_e64 s[40:41], v242, v42                       // 000000010780: D0C90028 000255F2
	v_add_u32_e32 v242, 64, v242                               // 000000010788: 69E5E4C0
	s_nop 0                                                    // 00000001078C: BF800000
	v_cndmask_b32_e64 v158, v41, v158, s[40:41]                // 000000010790: D100009E 00A33D29
	v_cmp_lt_u32_e64 s[40:41], v243, v42                       // 000000010798: D0C90028 000255F3
	v_add_u32_e32 v243, 64, v243                               // 0000000107A0: 69E7E6C0
	s_nop 0                                                    // 0000000107A4: BF800000
	v_cndmask_b32_e64 v159, v41, v159, s[40:41]                // 0000000107A8: D100009F 00A33F29
	v_mov_b32_e32 v62, v144                                    // 0000000107B0: 7E7C0390
	v_max3_f32 v62, v144, v145, v62                            // 0000000107B4: D1D3003E 04FB2390
	v_max3_f32 v62, v146, v147, v62                            // 0000000107BC: D1D3003E 04FB2792
	v_max3_f32 v62, v148, v149, v62                            // 0000000107C4: D1D3003E 04FB2B94
	v_max3_f32 v62, v150, v151, v62                            // 0000000107CC: D1D3003E 04FB2F96
	v_max3_f32 v62, v152, v153, v62                            // 0000000107D4: D1D3003E 04FB3398
	v_max3_f32 v62, v154, v155, v62                            // 0000000107DC: D1D3003E 04FB379A
	v_max3_f32 v62, v156, v157, v62                            // 0000000107E4: D1D3003E 04FB3B9C
	v_max3_f32 v62, v158, v159, v62                            // 0000000107EC: D1D3003E 04FB3F9E
	ds_write_b32 v11, v62 offset:16896                         // 0000000107F4: D81A4200 00003E0B
	v_mul_f32_e32 v232, v64, v232                              // 0000000107FC: 0BD1D140
	v_mul_f32_e32 v233, v64, v233                              // 000000010800: 0BD3D340
	v_mul_f32_e32 v234, v64, v234                              // 000000010804: 0BD5D540
	v_mul_f32_e32 v235, v64, v235                              // 000000010808: 0BD7D740
	v_mul_f32_e32 v236, v64, v236                              // 00000001080C: 0BD9D940
	v_mul_f32_e32 v237, v64, v237                              // 000000010810: 0BDBDB40
	v_mul_f32_e32 v238, v64, v238                              // 000000010814: 0BDDDD40
	v_mul_f32_e32 v239, v64, v239                              // 000000010818: 0BDFDF40
	s_waitcnt lgkmcnt(0)                                       // 00000001081C: BF8CC07F
	s_barrier                                                  // 000000010820: BF8A0000
	ds_read_b32 v80, v10 offset:16896                          // 000000010824: D86C4200 5000000A
	ds_read_b32 v81, v10 offset:16960                          // 00000001082C: D86C4240 5100000A
	ds_read_b32 v82, v10 offset:17024                          // 000000010834: D86C4280 5200000A
	ds_read_b32 v83, v10 offset:17088                          // 00000001083C: D86C42C0 5300000A
	ds_read_b32 v84, v10 offset:17152                          // 000000010844: D86C4300 5400000A
	ds_read_b32 v85, v10 offset:17216                          // 00000001084C: D86C4340 5500000A
	ds_read_b32 v86, v10 offset:17280                          // 000000010854: D86C4380 5600000A
	ds_read_b32 v87, v10 offset:17344                          // 00000001085C: D86C43C0 5700000A
	ds_read_b32 v88, v10 offset:17408                          // 000000010864: D86C4400 5800000A
	ds_read_b32 v89, v10 offset:17472                          // 00000001086C: D86C4440 5900000A
	ds_read_b32 v90, v10 offset:17536                          // 000000010874: D86C4480 5A00000A
	ds_read_b32 v91, v10 offset:17600                          // 00000001087C: D86C44C0 5B00000A
	ds_read_b32 v92, v10 offset:17664                          // 000000010884: D86C4500 5C00000A
	ds_read_b32 v93, v10 offset:17728                          // 00000001088C: D86C4540 5D00000A
	ds_read_b32 v94, v10 offset:17792                          // 000000010894: D86C4580 5E00000A
	ds_read_b32 v95, v10 offset:17856                          // 00000001089C: D86C45C0 5F00000A
	v_mul_f32_e32 v200, v59, v200                              // 0000000108A4: 0B91913B
	v_mul_f32_e32 v201, v59, v201                              // 0000000108A8: 0B93933B
	v_mul_f32_e32 v202, v59, v202                              // 0000000108AC: 0B95953B
	v_mul_f32_e32 v203, v59, v203                              // 0000000108B0: 0B97973B
	v_mul_f32_e32 v204, v59, v204                              // 0000000108B4: 0B99993B
	v_mul_f32_e32 v205, v59, v205                              // 0000000108B8: 0B9B9B3B
	v_mul_f32_e32 v206, v59, v206                              // 0000000108BC: 0B9D9D3B
	v_mul_f32_e32 v207, v59, v207                              // 0000000108C0: 0B9F9F3B
	s_waitcnt lgkmcnt(0)                                       // 0000000108C4: BF8CC07F
	v_max3_f32 v62, v80, v81, v62                              // 0000000108C8: D1D3003E 04FAA350
	v_max3_f32 v62, v82, v83, v62                              // 0000000108D0: D1D3003E 04FAA752
	v_max3_f32 v62, v84, v85, v62                              // 0000000108D8: D1D3003E 04FAAB54
	v_max3_f32 v62, v86, v87, v62                              // 0000000108E0: D1D3003E 04FAAF56
	v_max3_f32 v62, v88, v89, v62                              // 0000000108E8: D1D3003E 04FAB358
	v_max3_f32 v62, v90, v91, v62                              // 0000000108F0: D1D3003E 04FAB75A
	v_max3_f32 v62, v92, v93, v62                              // 0000000108F8: D1D3003E 04FABB5C
	v_max3_f32 v62, v94, v95, v62                              // 000000010900: D1D3003E 04FABF5E
	v_mov_b32_e32 v41, 0xff800000                              // 000000010908: 7E5202FF FF800000
	v_cmp_eq_u32_e64 s[40:41], v41, v15                        // 000000010910: D0CA0028 00021F29
	s_nop 1                                                    // 000000010918: BF800001
	v_max_f32_e32 v18, v62, v15                                // 00000001091C: 16241F3E
	v_mul_f32_e32 v67, s64, v18                                // 000000010920: 0A862440
	v_fma_f32 v144, v144, s64, -v67                            // 000000010924: D1CB0090 850C8190
	v_fma_f32 v145, v145, s64, -v67                            // 00000001092C: D1CB0091 850C8191
	v_fma_f32 v146, v146, s64, -v67                            // 000000010934: D1CB0092 850C8192
	v_fma_f32 v147, v147, s64, -v67                            // 00000001093C: D1CB0093 850C8193
	v_fma_f32 v148, v148, s64, -v67                            // 000000010944: D1CB0094 850C8194
	v_fma_f32 v149, v149, s64, -v67                            // 00000001094C: D1CB0095 850C8195
	v_fma_f32 v150, v150, s64, -v67                            // 000000010954: D1CB0096 850C8196
	v_fma_f32 v151, v151, s64, -v67                            // 00000001095C: D1CB0097 850C8197
	v_fma_f32 v152, v152, s64, -v67                            // 000000010964: D1CB0098 850C8198
	v_fma_f32 v153, v153, s64, -v67                            // 00000001096C: D1CB0099 850C8199
	v_fma_f32 v154, v154, s64, -v67                            // 000000010974: D1CB009A 850C819A
	v_fma_f32 v155, v155, s64, -v67                            // 00000001097C: D1CB009B 850C819B
	v_fma_f32 v156, v156, s64, -v67                            // 000000010984: D1CB009C 850C819C
	v_fma_f32 v157, v157, s64, -v67                            // 00000001098C: D1CB009D 850C819D
	v_fma_f32 v158, v158, s64, -v67                            // 000000010994: D1CB009E 850C819E
	v_fma_f32 v159, v159, s64, -v67                            // 00000001099C: D1CB009F 850C819F
	v_exp_f32_e32 v144, v144                                   // 0000000109A4: 7F204190
	v_exp_f32_e32 v145, v145                                   // 0000000109A8: 7F224191
	v_exp_f32_e32 v146, v146                                   // 0000000109AC: 7F244192
	v_exp_f32_e32 v147, v147                                   // 0000000109B0: 7F264193
	v_exp_f32_e32 v148, v148                                   // 0000000109B4: 7F284194
	v_exp_f32_e32 v149, v149                                   // 0000000109B8: 7F2A4195
	v_exp_f32_e32 v150, v150                                   // 0000000109BC: 7F2C4196
	v_exp_f32_e32 v151, v151                                   // 0000000109C0: 7F2E4197
	v_exp_f32_e32 v152, v152                                   // 0000000109C4: 7F304198
	v_exp_f32_e32 v153, v153                                   // 0000000109C8: 7F324199
	v_exp_f32_e32 v154, v154                                   // 0000000109CC: 7F34419A
	v_exp_f32_e32 v155, v155                                   // 0000000109D0: 7F36419B
	v_exp_f32_e32 v156, v156                                   // 0000000109D4: 7F38419C
	v_exp_f32_e32 v157, v157                                   // 0000000109D8: 7F3A419D
	v_exp_f32_e32 v158, v158                                   // 0000000109DC: 7F3C419E
	v_exp_f32_e32 v159, v159                                   // 0000000109E0: 7F3E419F
	v_mul_f32_dpp v240, v252, v144 quad_perm:[0,0,0,0] row_mask:0xf bank_mask:0xf// 0000000109E4: 0BE120FA FF0000FC
	v_mul_f32_dpp v241, v252, v145 quad_perm:[1,1,1,1] row_mask:0xf bank_mask:0xf// 0000000109EC: 0BE322FA FF0055FC
	v_mul_f32_dpp v242, v252, v146 quad_perm:[2,2,2,2] row_mask:0xf bank_mask:0xf// 0000000109F4: 0BE524FA FF00AAFC
	v_mul_f32_dpp v243, v252, v147 quad_perm:[3,3,3,3] row_mask:0xf bank_mask:0xf// 0000000109FC: 0BE726FA FF00FFFC
	v_mul_f32_dpp v244, v253, v148 quad_perm:[0,0,0,0] row_mask:0xf bank_mask:0xf// 000000010A04: 0BE928FA FF0000FD
	v_mul_f32_dpp v245, v253, v149 quad_perm:[1,1,1,1] row_mask:0xf bank_mask:0xf// 000000010A0C: 0BEB2AFA FF0055FD
	v_mul_f32_dpp v246, v253, v150 quad_perm:[2,2,2,2] row_mask:0xf bank_mask:0xf// 000000010A14: 0BED2CFA FF00AAFD
	v_mul_f32_dpp v247, v253, v151 quad_perm:[3,3,3,3] row_mask:0xf bank_mask:0xf// 000000010A1C: 0BEF2EFA FF00FFFD
	v_mul_f32_dpp v248, v254, v152 quad_perm:[0,0,0,0] row_mask:0xf bank_mask:0xf// 000000010A24: 0BF130FA FF0000FE
	v_mul_f32_dpp v249, v254, v153 quad_perm:[1,1,1,1] row_mask:0xf bank_mask:0xf// 000000010A2C: 0BF332FA FF0055FE
	v_mul_f32_dpp v250, v254, v154 quad_perm:[2,2,2,2] row_mask:0xf bank_mask:0xf// 000000010A34: 0BF534FA FF00AAFE
	v_mul_f32_dpp v251, v254, v155 quad_perm:[3,3,3,3] row_mask:0xf bank_mask:0xf// 000000010A3C: 0BF736FA FF00FFFE
	v_mul_f32_dpp v252, v255, v156 quad_perm:[0,0,0,0] row_mask:0xf bank_mask:0xf// 000000010A44: 0BF938FA FF0000FF
	v_mul_f32_dpp v253, v255, v157 quad_perm:[1,1,1,1] row_mask:0xf bank_mask:0xf// 000000010A4C: 0BFB3AFA FF0055FF
	v_mul_f32_dpp v254, v255, v158 quad_perm:[2,2,2,2] row_mask:0xf bank_mask:0xf// 000000010A54: 0BFD3CFA FF00AAFF
	v_mul_f32_dpp v255, v255, v159 quad_perm:[3,3,3,3] row_mask:0xf bank_mask:0xf// 000000010A5C: 0BFF3EFA FF00FFFF
	v_mov_b32_e32 v62, 0x358637bd                              // 000000010A64: 7E7C02FF 358637BD
	v_max3_f32 v62, |v240|, |v241|, v62                        // 000000010A6C: D1D3033E 04FBE3F0
	v_max3_f32 v62, |v242|, |v243|, v62                        // 000000010A74: D1D3033E 04FBE7F2
	v_max3_f32 v62, |v244|, |v245|, v62                        // 000000010A7C: D1D3033E 04FBEBF4
	v_max3_f32 v62, |v246|, |v247|, v62                        // 000000010A84: D1D3033E 04FBEFF6
	v_max3_f32 v62, |v248|, |v249|, v62                        // 000000010A8C: D1D3033E 04FBF3F8
	v_max3_f32 v62, |v250|, |v251|, v62                        // 000000010A94: D1D3033E 04FBF7FA
	v_max3_f32 v62, |v252|, |v253|, v62                        // 000000010A9C: D1D3033E 04FBFBFC
	v_max3_f32 v62, |v254|, |v255|, v62                        // 000000010AA4: D1D3033E 04FBFFFE
	ds_write_b32 v11, v62 offset:20992                         // 000000010AAC: D81A5200 00003E0B
	v_sub_f32_e32 v64, v15, v18                                // 000000010AB4: 0480250F
	v_cndmask_b32_e64 v64, v64, 0, s[40:41]                    // 000000010AB8: D1000040 00A10140
	v_mov_b32_e32 v15, v18                                     // 000000010AC0: 7E1E0312
	v_mul_f32_e32 v64, s64, v64                                // 000000010AC4: 0A808040
	v_exp_f32_e32 v64, v64                                     // 000000010AC8: 7E804140
	s_waitcnt lgkmcnt(0)                                       // 000000010ACC: BF8CC07F
	s_barrier                                                  // 000000010AD0: BF8A0000
	ds_read_b32 v80, v10 offset:20992                          // 000000010AD4: D86C5200 5000000A
	ds_read_b32 v81, v10 offset:21056                          // 000000010ADC: D86C5240 5100000A
	ds_read_b32 v82, v10 offset:21120                          // 000000010AE4: D86C5280 5200000A
	ds_read_b32 v83, v10 offset:21184                          // 000000010AEC: D86C52C0 5300000A
	ds_read_b32 v84, v10 offset:21248                          // 000000010AF4: D86C5300 5400000A
	ds_read_b32 v85, v10 offset:21312                          // 000000010AFC: D86C5340 5500000A
	ds_read_b32 v86, v10 offset:21376                          // 000000010B04: D86C5380 5600000A
	ds_read_b32 v87, v10 offset:21440                          // 000000010B0C: D86C53C0 5700000A
	ds_read_b32 v88, v10 offset:21504                          // 000000010B14: D86C5400 5800000A
	ds_read_b32 v89, v10 offset:21568                          // 000000010B1C: D86C5440 5900000A
	ds_read_b32 v90, v10 offset:21632                          // 000000010B24: D86C5480 5A00000A
	ds_read_b32 v91, v10 offset:21696                          // 000000010B2C: D86C54C0 5B00000A
	ds_read_b32 v92, v10 offset:21760                          // 000000010B34: D86C5500 5C00000A
	ds_read_b32 v93, v10 offset:21824                          // 000000010B3C: D86C5540 5D00000A
	ds_read_b32 v94, v10 offset:21888                          // 000000010B44: D86C5580 5E00000A
	ds_read_b32 v95, v10 offset:21952                          // 000000010B4C: D86C55C0 5F00000A
	v_mul_f32_e32 v48, v64, v48                                // 000000010B54: 0A606140
	v_mov_b32_e32 v18, v144                                    // 000000010B58: 7E240390
	v_add_f32_e32 v18, v145, v18                               // 000000010B5C: 02242591
	v_add_f32_e32 v18, v146, v18                               // 000000010B60: 02242592
	v_add_f32_e32 v18, v147, v18                               // 000000010B64: 02242593
	v_add_f32_e32 v18, v148, v18                               // 000000010B68: 02242594
	v_add_f32_e32 v18, v149, v18                               // 000000010B6C: 02242595
	v_add_f32_e32 v18, v150, v18                               // 000000010B70: 02242596
	v_add_f32_e32 v18, v151, v18                               // 000000010B74: 02242597
	v_add_f32_e32 v18, v152, v18                               // 000000010B78: 02242598
	v_add_f32_e32 v18, v153, v18                               // 000000010B7C: 02242599
	v_add_f32_e32 v18, v154, v18                               // 000000010B80: 0224259A
	v_add_f32_e32 v18, v155, v18                               // 000000010B84: 0224259B
	v_add_f32_e32 v18, v156, v18                               // 000000010B88: 0224259C
	v_add_f32_e32 v18, v157, v18                               // 000000010B8C: 0224259D
	v_add_f32_e32 v18, v158, v18                               // 000000010B90: 0224259E
	v_add_f32_e32 v18, v159, v18                               // 000000010B94: 0224259F
	v_add_f32_e32 v48, v18, v48                                // 000000010B98: 02606112
	s_waitcnt lgkmcnt(0)                                       // 000000010B9C: BF8CC07F
	v_max3_f32 v62, |v80|, |v81|, v62                          // 000000010BA0: D1D3033E 04FAA350
	v_max3_f32 v62, |v82|, |v83|, v62                          // 000000010BA8: D1D3033E 04FAA752
	v_max3_f32 v62, |v84|, |v85|, v62                          // 000000010BB0: D1D3033E 04FAAB54
	v_max3_f32 v62, |v86|, |v87|, v62                          // 000000010BB8: D1D3033E 04FAAF56
	v_max3_f32 v62, |v88|, |v89|, v62                          // 000000010BC0: D1D3033E 04FAB358
	v_max3_f32 v62, |v90|, |v91|, v62                          // 000000010BC8: D1D3033E 04FAB75A
	v_max3_f32 v62, |v92|, |v93|, v62                          // 000000010BD0: D1D3033E 04FABB5C
	v_max3_f32 v62, |v94|, |v95|, v62                          // 000000010BD8: D1D3033E 04FABF5E
	s_nop 2                                                    // 000000010BE0: BF800002
	v_rcp_f32_e32 v62, v62                                     // 000000010BE4: 7E7C453E
	s_nop 1                                                    // 000000010BE8: BF800001
	v_mul_f32_e32 v62, 0x43700000, v62                         // 000000010BEC: 0A7C7CFF 43700000
	v_mul_f32_e32 v144, v62, v240                              // 000000010BF4: 0B21E13E
	v_mul_f32_e32 v145, v62, v241                              // 000000010BF8: 0B23E33E
	v_mul_f32_e32 v146, v62, v242                              // 000000010BFC: 0B25E53E
	v_mul_f32_e32 v147, v62, v243                              // 000000010C00: 0B27E73E
	v_mul_f32_e32 v148, v62, v244                              // 000000010C04: 0B29E93E
	v_mul_f32_e32 v149, v62, v245                              // 000000010C08: 0B2BEB3E
	v_mul_f32_e32 v150, v62, v246                              // 000000010C0C: 0B2DED3E
	v_mul_f32_e32 v151, v62, v247                              // 000000010C10: 0B2FEF3E
	v_mul_f32_e32 v152, v62, v248                              // 000000010C14: 0B31F13E
	v_mul_f32_e32 v153, v62, v249                              // 000000010C18: 0B33F33E
	v_mul_f32_e32 v154, v62, v250                              // 000000010C1C: 0B35F53E
	v_mul_f32_e32 v155, v62, v251                              // 000000010C20: 0B37F73E
	v_mul_f32_e32 v156, v62, v252                              // 000000010C24: 0B39F93E
	v_mul_f32_e32 v157, v62, v253                              // 000000010C28: 0B3BFB3E
	v_mul_f32_e32 v158, v62, v254                              // 000000010C2C: 0B3DFD3E
	v_mul_f32_e32 v159, v62, v255                              // 000000010C30: 0B3FFF3E
	v_cvt_pk_fp8_f32 v144, v144, v145                          // 000000010C34: D2A20090 00032390
	v_cvt_pk_fp8_f32 v144, v146, v147 op_sel:[0,0,1]           // 000000010C3C: D2A24090 00032792
	v_cvt_pk_fp8_f32 v145, v148, v149                          // 000000010C44: D2A20091 00032B94
	v_cvt_pk_fp8_f32 v145, v150, v151 op_sel:[0,0,1]           // 000000010C4C: D2A24091 00032F96
	v_cvt_pk_fp8_f32 v146, v152, v153                          // 000000010C54: D2A20092 00033398
	v_cvt_pk_fp8_f32 v146, v154, v155 op_sel:[0,0,1]           // 000000010C5C: D2A24092 0003379A
	v_cvt_pk_fp8_f32 v147, v156, v157                          // 000000010C64: D2A20093 00033B9C
	v_cvt_pk_fp8_f32 v147, v158, v159 op_sel:[0,0,1]           // 000000010C6C: D2A24093 00033F9E
	ds_write_b32 v13, v144 offset:29184                        // 000000010C74: D81A7200 0000900D
	ds_write_b32 v13, v145 offset:30208                        // 000000010C7C: D81A7600 0000910D
	ds_write_b32 v13, v146 offset:31232                        // 000000010C84: D81A7A00 0000920D
	ds_write_b32 v13, v147 offset:32256                        // 000000010C8C: D81A7E00 0000930D
	v_add_f32_e32 v232, v232, v200                             // 000000010C94: 03D191E8
	v_add_f32_e32 v233, v233, v201                             // 000000010C98: 03D393E9
	v_add_f32_e32 v234, v234, v202                             // 000000010C9C: 03D595EA
	v_add_f32_e32 v235, v235, v203                             // 000000010CA0: 03D797EB
	v_add_f32_e32 v236, v236, v204                             // 000000010CA4: 03D999EC
	v_add_f32_e32 v237, v237, v205                             // 000000010CA8: 03DB9BED
	v_add_f32_e32 v238, v238, v206                             // 000000010CAC: 03DD9DEE
	v_add_f32_e32 v239, v239, v207                             // 000000010CB0: 03DF9FEF
	v_rcp_f32_e32 v59, v62                                     // 000000010CB4: 7E76453E
	s_waitcnt lgkmcnt(0)                                       // 000000010CB8: BF8CC07F
	s_barrier                                                  // 000000010CBC: BF8A0000
	ds_read_b64 v[144:145], v12 offset:29184                   // 000000010CC0: D8EC7200 9000000C
	ds_read_b64 v[146:147], v12 offset:29312                   // 000000010CC8: D8EC7280 9200000C
	ds_read_b64 v[148:149], v12 offset:30208                   // 000000010CD0: D8EC7600 9400000C
	ds_read_b64 v[150:151], v12 offset:30336                   // 000000010CD8: D8EC7680 9600000C
	ds_read_b64 v[152:153], v12 offset:31232                   // 000000010CE0: D8EC7A00 9800000C
	ds_read_b64 v[154:155], v12 offset:31360                   // 000000010CE8: D8EC7A80 9A00000C
	ds_read_b64 v[156:157], v12 offset:32256                   // 000000010CF0: D8EC7E00 9C00000C
	ds_read_b64 v[158:159], v12 offset:32384                   // 000000010CF8: D8EC7E80 9E00000C
	s_waitcnt vmcnt(0)                                         // 000000010D00: BF8C0F70
	s_barrier                                                  // 000000010D04: BF8A0000
	v_mfma_f32_16x16x32_fp8_fp8 v[192:195], a[96:97], v[128:129], 0// 000000010D08: D3F300C0 0A030160
	v_mfma_f32_16x16x32_fp8_fp8 v[192:195], a[98:99], v[130:131], v[192:195]// 000000010D10: D3F300C0 0F030562
	v_mfma_f32_16x16x32_fp8_fp8 v[192:195], a[100:101], v[132:133], v[192:195]// 000000010D18: D3F300C0 0F030964
	v_mfma_f32_16x16x32_fp8_fp8 v[192:195], a[102:103], v[134:135], v[192:195]// 000000010D20: D3F300C0 0F030D66
	v_mfma_f32_16x16x32_fp8_fp8 v[192:195], a[104:105], v[136:137], v[192:195]// 000000010D28: D3F300C0 0F031168
	v_mfma_f32_16x16x32_fp8_fp8 v[192:195], a[106:107], v[138:139], v[192:195]// 000000010D30: D3F300C0 0F03156A
	v_mfma_f32_16x16x32_fp8_fp8 v[192:195], a[108:109], v[140:141], v[192:195]// 000000010D38: D3F300C0 0F03196C
	v_mfma_f32_16x16x32_fp8_fp8 v[192:195], a[110:111], v[142:143], v[192:195]// 000000010D40: D3F300C0 0F031D6E
	v_mfma_f32_16x16x32_fp8_fp8 v[196:199], a[112:113], v[128:129], 0// 000000010D48: D3F300C4 0A030170
	v_mfma_f32_16x16x32_fp8_fp8 v[196:199], a[114:115], v[130:131], v[196:199]// 000000010D50: D3F300C4 0F130572
	v_mfma_f32_16x16x32_fp8_fp8 v[196:199], a[116:117], v[132:133], v[196:199]// 000000010D58: D3F300C4 0F130974
	v_mfma_f32_16x16x32_fp8_fp8 v[196:199], a[118:119], v[134:135], v[196:199]// 000000010D60: D3F300C4 0F130D76
	v_mfma_f32_16x16x32_fp8_fp8 v[196:199], a[120:121], v[136:137], v[196:199]// 000000010D68: D3F300C4 0F131178
	v_mfma_f32_16x16x32_fp8_fp8 v[196:199], a[122:123], v[138:139], v[196:199]// 000000010D70: D3F300C4 0F13157A
	v_mfma_f32_16x16x32_fp8_fp8 v[196:199], a[124:125], v[140:141], v[196:199]// 000000010D78: D3F300C4 0F13197C
	v_mfma_f32_16x16x32_fp8_fp8 v[196:199], a[126:127], v[142:143], v[196:199]// 000000010D80: D3F300C4 0F131D7E
	v_mfma_f32_16x16x32_fp8_fp8 v[200:203], a[96:97], v[144:145], 0// 000000010D88: D3F300C8 0A032160
	v_mfma_f32_16x16x32_fp8_fp8 v[200:203], a[98:99], v[146:147], v[200:203]// 000000010D90: D3F300C8 0F232562
	v_mfma_f32_16x16x32_fp8_fp8 v[200:203], a[100:101], v[148:149], v[200:203]// 000000010D98: D3F300C8 0F232964
	v_mfma_f32_16x16x32_fp8_fp8 v[200:203], a[102:103], v[150:151], v[200:203]// 000000010DA0: D3F300C8 0F232D66
	v_mfma_f32_16x16x32_fp8_fp8 v[200:203], a[104:105], v[152:153], v[200:203]// 000000010DA8: D3F300C8 0F233168
	v_mfma_f32_16x16x32_fp8_fp8 v[200:203], a[106:107], v[154:155], v[200:203]// 000000010DB0: D3F300C8 0F23356A
	v_mfma_f32_16x16x32_fp8_fp8 v[200:203], a[108:109], v[156:157], v[200:203]// 000000010DB8: D3F300C8 0F23396C
	v_mfma_f32_16x16x32_fp8_fp8 v[200:203], a[110:111], v[158:159], v[200:203]// 000000010DC0: D3F300C8 0F233D6E
	v_mfma_f32_16x16x32_fp8_fp8 v[204:207], a[112:113], v[144:145], 0// 000000010DC8: D3F300CC 0A032170
	v_mfma_f32_16x16x32_fp8_fp8 v[204:207], a[114:115], v[146:147], v[204:207]// 000000010DD0: D3F300CC 0F332572
	v_mfma_f32_16x16x32_fp8_fp8 v[204:207], a[116:117], v[148:149], v[204:207]// 000000010DD8: D3F300CC 0F332974
	v_mfma_f32_16x16x32_fp8_fp8 v[204:207], a[118:119], v[150:151], v[204:207]// 000000010DE0: D3F300CC 0F332D76
	v_mfma_f32_16x16x32_fp8_fp8 v[204:207], a[120:121], v[152:153], v[204:207]// 000000010DE8: D3F300CC 0F333178
	v_mfma_f32_16x16x32_fp8_fp8 v[204:207], a[122:123], v[154:155], v[204:207]// 000000010DF0: D3F300CC 0F33357A
	v_mfma_f32_16x16x32_fp8_fp8 v[204:207], a[124:125], v[156:157], v[204:207]// 000000010DF8: D3F300CC 0F33397C
	v_mfma_f32_16x16x32_fp8_fp8 v[204:207], a[126:127], v[158:159], v[204:207]// 000000010E00: D3F300CC 0F333D7E
	s_nop 4                                                    // 000000010E08: BF800004
	s_branch label_3B04                                        // 000000010E0C: BF820000

0000000000010e10 <label_3B04>:
	s_mov_b32 s60, 0xa0                                        // 000000010E10: BEBC00FF 000000A0
	s_cmp_eq_i32 s88, s60                                      // 000000010E18: BF003C58
	s_cbranch_scc1 label_3C35                                  // 000000010E1C: BF85012D
	v_mul_f32_e32 v224, v63, v224                              // 000000010E20: 0BC1C13F
	v_mul_f32_e32 v225, v63, v225                              // 000000010E24: 0BC3C33F
	v_mul_f32_e32 v226, v63, v226                              // 000000010E28: 0BC5C53F
	v_mul_f32_e32 v227, v63, v227                              // 000000010E2C: 0BC7C73F
	v_mul_f32_e32 v228, v63, v228                              // 000000010E30: 0BC9C93F
	v_mul_f32_e32 v229, v63, v229                              // 000000010E34: 0BCBCB3F
	v_mul_f32_e32 v230, v63, v230                              // 000000010E38: 0BCDCD3F
	v_mul_f32_e32 v231, v63, v231                              // 000000010E3C: 0BCFCF3F
	v_mul_f32_e32 v192, v58, v192                              // 000000010E40: 0B81813A
	v_mul_f32_e32 v193, v58, v193                              // 000000010E44: 0B83833A
	v_mul_f32_e32 v194, v58, v194                              // 000000010E48: 0B85853A
	v_mul_f32_e32 v195, v58, v195                              // 000000010E4C: 0B87873A
	v_mul_f32_e32 v196, v58, v196                              // 000000010E50: 0B89893A
	v_mul_f32_e32 v197, v58, v197                              // 000000010E54: 0B8B8B3A
	v_mul_f32_e32 v198, v58, v198                              // 000000010E58: 0B8D8D3A
	v_mul_f32_e32 v199, v58, v199                              // 000000010E5C: 0B8F8F3A
	v_add_f32_e32 v224, v224, v192                             // 000000010E60: 03C181E0
	v_add_f32_e32 v225, v225, v193                             // 000000010E64: 03C383E1
	v_add_f32_e32 v226, v226, v194                             // 000000010E68: 03C585E2
	v_add_f32_e32 v227, v227, v195                             // 000000010E6C: 03C787E3
	v_add_f32_e32 v228, v228, v196                             // 000000010E70: 03C989E4
	v_add_f32_e32 v229, v229, v197                             // 000000010E74: 03CB8BE5
	v_add_f32_e32 v230, v230, v198                             // 000000010E78: 03CD8DE6
	v_add_f32_e32 v231, v231, v199                             // 000000010E7C: 03CF8FE7
	ds_write_b32 v11, v47 offset:16896                         // 000000010E80: D81A4200 00002F0B
	s_waitcnt lgkmcnt(0)                                       // 000000010E88: BF8CC07F
	s_barrier                                                  // 000000010E8C: BF8A0000
	ds_read_b32 v80, v10 offset:16896                          // 000000010E90: D86C4200 5000000A
	ds_read_b32 v81, v10 offset:16960                          // 000000010E98: D86C4240 5100000A
	ds_read_b32 v82, v10 offset:17024                          // 000000010EA0: D86C4280 5200000A
	ds_read_b32 v83, v10 offset:17088                          // 000000010EA8: D86C42C0 5300000A
	ds_read_b32 v84, v10 offset:17152                          // 000000010EB0: D86C4300 5400000A
	ds_read_b32 v85, v10 offset:17216                          // 000000010EB8: D86C4340 5500000A
	ds_read_b32 v86, v10 offset:17280                          // 000000010EC0: D86C4380 5600000A
	ds_read_b32 v87, v10 offset:17344                          // 000000010EC8: D86C43C0 5700000A
	ds_read_b32 v88, v10 offset:17408                          // 000000010ED0: D86C4400 5800000A
	ds_read_b32 v89, v10 offset:17472                          // 000000010ED8: D86C4440 5900000A
	ds_read_b32 v90, v10 offset:17536                          // 000000010EE0: D86C4480 5A00000A
	ds_read_b32 v91, v10 offset:17600                          // 000000010EE8: D86C44C0 5B00000A
	ds_read_b32 v92, v10 offset:17664                          // 000000010EF0: D86C4500 5C00000A
	ds_read_b32 v93, v10 offset:17728                          // 000000010EF8: D86C4540 5D00000A
	ds_read_b32 v94, v10 offset:17792                          // 000000010F00: D86C4580 5E00000A
	ds_read_b32 v95, v10 offset:17856                          // 000000010F08: D86C45C0 5F00000A
	s_waitcnt lgkmcnt(0)                                       // 000000010F10: BF8CC07F
	v_mov_b32_e32 v47, 0                                       // 000000010F14: 7E5E0280
	v_add_f32_e32 v47, v80, v47                                // 000000010F18: 025E5F50
	v_add_f32_e32 v47, v81, v47                                // 000000010F1C: 025E5F51
	v_add_f32_e32 v47, v82, v47                                // 000000010F20: 025E5F52
	v_add_f32_e32 v47, v83, v47                                // 000000010F24: 025E5F53
	v_add_f32_e32 v47, v84, v47                                // 000000010F28: 025E5F54
	v_add_f32_e32 v47, v85, v47                                // 000000010F2C: 025E5F55
	v_add_f32_e32 v47, v86, v47                                // 000000010F30: 025E5F56
	v_add_f32_e32 v47, v87, v47                                // 000000010F34: 025E5F57
	v_add_f32_e32 v47, v88, v47                                // 000000010F38: 025E5F58
	v_add_f32_e32 v47, v89, v47                                // 000000010F3C: 025E5F59
	v_add_f32_e32 v47, v90, v47                                // 000000010F40: 025E5F5A
	v_add_f32_e32 v47, v91, v47                                // 000000010F44: 025E5F5B
	v_add_f32_e32 v47, v92, v47                                // 000000010F48: 025E5F5C
	v_add_f32_e32 v47, v93, v47                                // 000000010F4C: 025E5F5D
	v_add_f32_e32 v47, v94, v47                                // 000000010F50: 025E5F5E
	v_add_f32_e32 v47, v95, v47                                // 000000010F54: 025E5F5F
	s_nop 1                                                    // 000000010F58: BF800001
	v_rcp_f32_e32 v47, v47                                     // 000000010F5C: 7E5E452F
	s_nop 1                                                    // 000000010F60: BF800001
	v_mul_f32_e32 v224, v47, v224                              // 000000010F64: 0BC1C12F
	v_mul_f32_e32 v225, v47, v225                              // 000000010F68: 0BC3C32F
	v_mul_f32_e32 v226, v47, v226                              // 000000010F6C: 0BC5C52F
	v_mul_f32_e32 v227, v47, v227                              // 000000010F70: 0BC7C72F
	v_mul_f32_e32 v228, v47, v228                              // 000000010F74: 0BC9C92F
	v_mul_f32_e32 v229, v47, v229                              // 000000010F78: 0BCBCB2F
	v_mul_f32_e32 v230, v47, v230                              // 000000010F7C: 0BCDCD2F
	v_mul_f32_e32 v231, v47, v231                              // 000000010F80: 0BCFCF2F
	v_cvt_pkrtz_f16_f32 v41, v224, v225                        // 000000010F84: D2960029 0003C3E0
	v_mov_b32_e32 v224, v41                                    // 000000010F8C: 7FC00329
	v_cvt_pkrtz_f16_f32 v41, v226, v227                        // 000000010F90: D2960029 0003C7E2
	v_mov_b32_e32 v225, v41                                    // 000000010F98: 7FC20329
	v_cvt_pkrtz_f16_f32 v41, v228, v229                        // 000000010F9C: D2960029 0003CBE4
	v_mov_b32_e32 v226, v41                                    // 000000010FA4: 7FC40329
	v_cvt_pkrtz_f16_f32 v41, v230, v231                        // 000000010FA8: D2960029 0003CFE6
	v_mov_b32_e32 v227, v41                                    // 000000010FB0: 7FC60329
	s_nop 1                                                    // 000000010FB4: BF800001
	v_lshrrev_b32_e32 v41, 4, v0                               // 000000010FB8: 20520084
	v_mul_i32_i24_e32 v45, 34, v41                             // 000000010FBC: 0C5A52A2
	v_and_b32_e32 v41, 15, v0                                  // 000000010FC0: 2652008F
	v_mul_i32_i24_e32 v42, 2, v41                              // 000000010FC4: 0C545282
	v_add_u32_e32 v45, v42, v45                                // 000000010FC8: 685A5B2A
	s_mul_i32 s60, s7, 0x88                                    // 000000010FCC: 923CFF07 00000088
	v_add_u32_e32 v45, s60, v45                                // 000000010FD4: 685A5A3C
	v_lshlrev_b32_e32 v45, 2, v45                              // 000000010FD8: 245A5A82
	ds_write_b64 v45, v[224:225] offset:41472                  // 000000010FDC: D89AA200 0000E02D
	ds_write_b64 v45, v[226:227] offset:43648                  // 000000010FE4: D89AAA80 0000E22D
	v_lshrrev_b32_e32 v41, 1, v0                               // 000000010FEC: 20520081
	v_mul_i32_i24_e32 v45, 34, v41                             // 000000010FF0: 0C5A52A2
	v_and_b32_e32 v42, 1, v0                                   // 000000010FF4: 26540081
	v_add_u32_e32 v45, v42, v45                                // 000000010FF8: 685A5B2A
	s_mul_i32 s60, s7, 2                                       // 000000010FFC: 923C8207
	v_add_u32_e32 v45, s60, v45                                // 000000011000: 685A5A3C
	v_lshlrev_b32_e32 v45, 2, v45                              // 000000011004: 245A5A82
	s_waitcnt lgkmcnt(0)                                       // 000000011008: BF8CC07F
	s_barrier                                                  // 00000001100C: BF8A0000
	ds_read_b32 v224, v45 offset:41472                         // 000000011010: D86CA200 E000002D
	ds_read_b32 v225, v45 offset:41504                         // 000000011018: D86CA220 E100002D
	ds_read_b32 v226, v45 offset:41536                         // 000000011020: D86CA240 E200002D
	ds_read_b32 v227, v45 offset:41568                         // 000000011028: D86CA260 E300002D
	s_mul_i32 s60, s7, 0x100                                   // 000000011030: 923CFF07 00000100
	v_lshlrev_b32_e32 v41, 2, v0                               // 000000011038: 24520082
	v_add_u32_e64 v41, v41, s60                                // 00000001103C: D1340029 00007929
	s_waitcnt lgkmcnt(0)                                       // 000000011044: BF8CC07F
	buffer_store_dword v224, v41, s[8:11], 0 offen             // 000000011048: E0701000 8002E029
	buffer_store_dword v225, v41, s[8:11], 0 offen offset:1024 // 000000011050: E0701400 8002E129
	s_add_u32 s8, s75, s8                                      // 000000011058: 8008084B
	s_addc_u32 s9, 0, s9                                       // 00000001105C: 82090980
	buffer_store_dword v226, v41, s[8:11], 0 offen             // 000000011060: E0701000 8002E229
	buffer_store_dword v227, v41, s[8:11], 0 offen offset:1024 // 000000011068: E0701400 8002E329
	s_add_u32 s8, s75, s8                                      // 000000011070: 8008084B
	s_addc_u32 s9, 0, s9                                       // 000000011074: 82090980
	v_mul_f32_e32 v232, v64, v232                              // 000000011078: 0BD1D140
	v_mul_f32_e32 v233, v64, v233                              // 00000001107C: 0BD3D340
	v_mul_f32_e32 v234, v64, v234                              // 000000011080: 0BD5D540
	v_mul_f32_e32 v235, v64, v235                              // 000000011084: 0BD7D740
	v_mul_f32_e32 v236, v64, v236                              // 000000011088: 0BD9D940
	v_mul_f32_e32 v237, v64, v237                              // 00000001108C: 0BDBDB40
	v_mul_f32_e32 v238, v64, v238                              // 000000011090: 0BDDDD40
	v_mul_f32_e32 v239, v64, v239                              // 000000011094: 0BDFDF40
	v_mul_f32_e32 v200, v59, v200                              // 000000011098: 0B91913B
	v_mul_f32_e32 v201, v59, v201                              // 00000001109C: 0B93933B
	v_mul_f32_e32 v202, v59, v202                              // 0000000110A0: 0B95953B
	v_mul_f32_e32 v203, v59, v203                              // 0000000110A4: 0B97973B
	v_mul_f32_e32 v204, v59, v204                              // 0000000110A8: 0B99993B
	v_mul_f32_e32 v205, v59, v205                              // 0000000110AC: 0B9B9B3B
	v_mul_f32_e32 v206, v59, v206                              // 0000000110B0: 0B9D9D3B
	v_mul_f32_e32 v207, v59, v207                              // 0000000110B4: 0B9F9F3B
	v_add_f32_e32 v232, v232, v200                             // 0000000110B8: 03D191E8
	v_add_f32_e32 v233, v233, v201                             // 0000000110BC: 03D393E9
	v_add_f32_e32 v234, v234, v202                             // 0000000110C0: 03D595EA
	v_add_f32_e32 v235, v235, v203                             // 0000000110C4: 03D797EB
	v_add_f32_e32 v236, v236, v204                             // 0000000110C8: 03D999EC
	v_add_f32_e32 v237, v237, v205                             // 0000000110CC: 03DB9BED
	v_add_f32_e32 v238, v238, v206                             // 0000000110D0: 03DD9DEE
	v_add_f32_e32 v239, v239, v207                             // 0000000110D4: 03DF9FEF
	ds_write_b32 v11, v48 offset:16896                         // 0000000110D8: D81A4200 0000300B
	s_waitcnt lgkmcnt(0)                                       // 0000000110E0: BF8CC07F
	s_barrier                                                  // 0000000110E4: BF8A0000
	ds_read_b32 v80, v10 offset:16896                          // 0000000110E8: D86C4200 5000000A
	ds_read_b32 v81, v10 offset:16960                          // 0000000110F0: D86C4240 5100000A
	ds_read_b32 v82, v10 offset:17024                          // 0000000110F8: D86C4280 5200000A
	ds_read_b32 v83, v10 offset:17088                          // 000000011100: D86C42C0 5300000A
	ds_read_b32 v84, v10 offset:17152                          // 000000011108: D86C4300 5400000A
	ds_read_b32 v85, v10 offset:17216                          // 000000011110: D86C4340 5500000A
	ds_read_b32 v86, v10 offset:17280                          // 000000011118: D86C4380 5600000A
	ds_read_b32 v87, v10 offset:17344                          // 000000011120: D86C43C0 5700000A
	ds_read_b32 v88, v10 offset:17408                          // 000000011128: D86C4400 5800000A
	ds_read_b32 v89, v10 offset:17472                          // 000000011130: D86C4440 5900000A
	ds_read_b32 v90, v10 offset:17536                          // 000000011138: D86C4480 5A00000A
	ds_read_b32 v91, v10 offset:17600                          // 000000011140: D86C44C0 5B00000A
	ds_read_b32 v92, v10 offset:17664                          // 000000011148: D86C4500 5C00000A
	ds_read_b32 v93, v10 offset:17728                          // 000000011150: D86C4540 5D00000A
	ds_read_b32 v94, v10 offset:17792                          // 000000011158: D86C4580 5E00000A
	ds_read_b32 v95, v10 offset:17856                          // 000000011160: D86C45C0 5F00000A
	s_waitcnt lgkmcnt(0)                                       // 000000011168: BF8CC07F
	v_mov_b32_e32 v48, 0                                       // 00000001116C: 7E600280
	v_add_f32_e32 v48, v80, v48                                // 000000011170: 02606150
	v_add_f32_e32 v48, v81, v48                                // 000000011174: 02606151
	;; [unrolled: 1-line block ×3, first 2 shown]
	v_add_f32_e32 v48, v83, v48                                // 00000001117C: 02606153
	v_add_f32_e32 v48, v84, v48                                // 000000011180: 02606154
	v_add_f32_e32 v48, v85, v48                                // 000000011184: 02606155
	;; [unrolled: 1-line block ×3, first 2 shown]
	v_add_f32_e32 v48, v87, v48                                // 00000001118C: 02606157
	v_add_f32_e32 v48, v88, v48                                // 000000011190: 02606158
	v_add_f32_e32 v48, v89, v48                                // 000000011194: 02606159
	v_add_f32_e32 v48, v90, v48                                // 000000011198: 0260615A
	v_add_f32_e32 v48, v91, v48                                // 00000001119C: 0260615B
	v_add_f32_e32 v48, v92, v48                                // 0000000111A0: 0260615C
	v_add_f32_e32 v48, v93, v48                                // 0000000111A4: 0260615D
	v_add_f32_e32 v48, v94, v48                                // 0000000111A8: 0260615E
	v_add_f32_e32 v48, v95, v48                                // 0000000111AC: 0260615F
	s_nop 1                                                    // 0000000111B0: BF800001
	v_rcp_f32_e32 v48, v48                                     // 0000000111B4: 7E604530
	s_nop 1                                                    // 0000000111B8: BF800001
	v_mul_f32_e32 v232, v48, v232                              // 0000000111BC: 0BD1D130
	v_mul_f32_e32 v233, v48, v233                              // 0000000111C0: 0BD3D330
	v_mul_f32_e32 v234, v48, v234                              // 0000000111C4: 0BD5D530
	v_mul_f32_e32 v235, v48, v235                              // 0000000111C8: 0BD7D730
	v_mul_f32_e32 v236, v48, v236                              // 0000000111CC: 0BD9D930
	v_mul_f32_e32 v237, v48, v237                              // 0000000111D0: 0BDBDB30
	v_mul_f32_e32 v238, v48, v238                              // 0000000111D4: 0BDDDD30
	v_mul_f32_e32 v239, v48, v239                              // 0000000111D8: 0BDFDF30
	v_cvt_pkrtz_f16_f32 v41, v232, v233                        // 0000000111DC: D2960029 0003D3E8
	v_mov_b32_e32 v232, v41                                    // 0000000111E4: 7FD00329
	v_cvt_pkrtz_f16_f32 v41, v234, v235                        // 0000000111E8: D2960029 0003D7EA
	v_mov_b32_e32 v233, v41                                    // 0000000111F0: 7FD20329
	v_cvt_pkrtz_f16_f32 v41, v236, v237                        // 0000000111F4: D2960029 0003DBEC
	v_mov_b32_e32 v234, v41                                    // 0000000111FC: 7FD40329
	v_cvt_pkrtz_f16_f32 v41, v238, v239                        // 000000011200: D2960029 0003DFEE
	v_mov_b32_e32 v235, v41                                    // 000000011208: 7FD60329
	s_nop 1                                                    // 00000001120C: BF800001
	v_lshrrev_b32_e32 v41, 4, v0                               // 000000011210: 20520084
	v_mul_i32_i24_e32 v45, 34, v41                             // 000000011214: 0C5A52A2
	v_and_b32_e32 v41, 15, v0                                  // 000000011218: 2652008F
	v_mul_i32_i24_e32 v42, 2, v41                              // 00000001121C: 0C545282
	v_add_u32_e32 v45, v42, v45                                // 000000011220: 685A5B2A
	s_mul_i32 s60, s7, 0x88                                    // 000000011224: 923CFF07 00000088
	v_add_u32_e32 v45, s60, v45                                // 00000001122C: 685A5A3C
	v_lshlrev_b32_e32 v45, 2, v45                              // 000000011230: 245A5A82
	ds_write_b64 v45, v[232:233] offset:41472                  // 000000011234: D89AA200 0000E82D
	ds_write_b64 v45, v[234:235] offset:43648                  // 00000001123C: D89AAA80 0000EA2D
	v_lshrrev_b32_e32 v41, 1, v0                               // 000000011244: 20520081
	v_mul_i32_i24_e32 v45, 34, v41                             // 000000011248: 0C5A52A2
	v_and_b32_e32 v42, 1, v0                                   // 00000001124C: 26540081
	v_add_u32_e32 v45, v42, v45                                // 000000011250: 685A5B2A
	s_mul_i32 s60, s7, 2                                       // 000000011254: 923C8207
	v_add_u32_e32 v45, s60, v45                                // 000000011258: 685A5A3C
	v_lshlrev_b32_e32 v45, 2, v45                              // 00000001125C: 245A5A82
	s_waitcnt lgkmcnt(0)                                       // 000000011260: BF8CC07F
	s_barrier                                                  // 000000011264: BF8A0000
	ds_read_b32 v232, v45 offset:41472                         // 000000011268: D86CA200 E800002D
	ds_read_b32 v233, v45 offset:41504                         // 000000011270: D86CA220 E900002D
	ds_read_b32 v234, v45 offset:41536                         // 000000011278: D86CA240 EA00002D
	ds_read_b32 v235, v45 offset:41568                         // 000000011280: D86CA260 EB00002D
	s_mul_i32 s60, s7, 0x100                                   // 000000011288: 923CFF07 00000100
	v_lshlrev_b32_e32 v41, 2, v0                               // 000000011290: 24520082
	v_add_u32_e64 v41, v41, s60                                // 000000011294: D1340029 00007929
	s_waitcnt lgkmcnt(0)                                       // 00000001129C: BF8CC07F
	buffer_store_dword v232, v41, s[8:11], 0 offen             // 0000000112A0: E0701000 8002E829
	buffer_store_dword v233, v41, s[8:11], 0 offen offset:1024 // 0000000112A8: E0701400 8002E929
	s_add_u32 s8, s75, s8                                      // 0000000112B0: 8008084B
	s_addc_u32 s9, 0, s9                                       // 0000000112B4: 82090980
	buffer_store_dword v234, v41, s[8:11], 0 offen             // 0000000112B8: E0701000 8002EA29
	buffer_store_dword v235, v41, s[8:11], 0 offen offset:1024 // 0000000112C0: E0701400 8002EB29
	s_add_u32 s8, s75, s8                                      // 0000000112C8: 8008084B
	s_addc_u32 s9, 0, s9                                       // 0000000112CC: 82090980
	s_branch label_3D58                                        // 0000000112D0: BF820123

00000000000112d4 <label_3C35>:
	v_mul_f32_e32 v224, v63, v224                              // 0000000112D4: 0BC1C13F
	v_mul_f32_e32 v225, v63, v225                              // 0000000112D8: 0BC3C33F
	v_mul_f32_e32 v226, v63, v226                              // 0000000112DC: 0BC5C53F
	v_mul_f32_e32 v227, v63, v227                              // 0000000112E0: 0BC7C73F
	v_mul_f32_e32 v228, v63, v228                              // 0000000112E4: 0BC9C93F
	v_mul_f32_e32 v229, v63, v229                              // 0000000112E8: 0BCBCB3F
	v_mul_f32_e32 v230, v63, v230                              // 0000000112EC: 0BCDCD3F
	v_mul_f32_e32 v231, v63, v231                              // 0000000112F0: 0BCFCF3F
	v_mul_f32_e32 v192, v58, v192                              // 0000000112F4: 0B81813A
	v_mul_f32_e32 v193, v58, v193                              // 0000000112F8: 0B83833A
	v_mul_f32_e32 v194, v58, v194                              // 0000000112FC: 0B85853A
	v_mul_f32_e32 v195, v58, v195                              // 000000011300: 0B87873A
	v_mul_f32_e32 v196, v58, v196                              // 000000011304: 0B89893A
	v_mul_f32_e32 v197, v58, v197                              // 000000011308: 0B8B8B3A
	v_mul_f32_e32 v198, v58, v198                              // 00000001130C: 0B8D8D3A
	v_mul_f32_e32 v199, v58, v199                              // 000000011310: 0B8F8F3A
	v_add_f32_e32 v224, v224, v192                             // 000000011314: 03C181E0
	v_add_f32_e32 v225, v225, v193                             // 000000011318: 03C383E1
	v_add_f32_e32 v226, v226, v194                             // 00000001131C: 03C585E2
	v_add_f32_e32 v227, v227, v195                             // 000000011320: 03C787E3
	v_add_f32_e32 v228, v228, v196                             // 000000011324: 03C989E4
	v_add_f32_e32 v229, v229, v197                             // 000000011328: 03CB8BE5
	v_add_f32_e32 v230, v230, v198                             // 00000001132C: 03CD8DE6
	v_add_f32_e32 v231, v231, v199                             // 000000011330: 03CF8FE7
	ds_write_b32 v11, v47 offset:16896                         // 000000011334: D81A4200 00002F0B
	s_waitcnt lgkmcnt(0)                                       // 00000001133C: BF8CC07F
	s_barrier                                                  // 000000011340: BF8A0000
	ds_read_b32 v80, v10 offset:16896                          // 000000011344: D86C4200 5000000A
	ds_read_b32 v81, v10 offset:16960                          // 00000001134C: D86C4240 5100000A
	ds_read_b32 v82, v10 offset:17024                          // 000000011354: D86C4280 5200000A
	ds_read_b32 v83, v10 offset:17088                          // 00000001135C: D86C42C0 5300000A
	ds_read_b32 v84, v10 offset:17152                          // 000000011364: D86C4300 5400000A
	ds_read_b32 v85, v10 offset:17216                          // 00000001136C: D86C4340 5500000A
	ds_read_b32 v86, v10 offset:17280                          // 000000011374: D86C4380 5600000A
	ds_read_b32 v87, v10 offset:17344                          // 00000001137C: D86C43C0 5700000A
	ds_read_b32 v88, v10 offset:17408                          // 000000011384: D86C4400 5800000A
	ds_read_b32 v89, v10 offset:17472                          // 00000001138C: D86C4440 5900000A
	ds_read_b32 v90, v10 offset:17536                          // 000000011394: D86C4480 5A00000A
	ds_read_b32 v91, v10 offset:17600                          // 00000001139C: D86C44C0 5B00000A
	ds_read_b32 v92, v10 offset:17664                          // 0000000113A4: D86C4500 5C00000A
	ds_read_b32 v93, v10 offset:17728                          // 0000000113AC: D86C4540 5D00000A
	ds_read_b32 v94, v10 offset:17792                          // 0000000113B4: D86C4580 5E00000A
	ds_read_b32 v95, v10 offset:17856                          // 0000000113BC: D86C45C0 5F00000A
	s_waitcnt lgkmcnt(0)                                       // 0000000113C4: BF8CC07F
	v_mov_b32_e32 v47, 0                                       // 0000000113C8: 7E5E0280
	v_add_f32_e32 v47, v80, v47                                // 0000000113CC: 025E5F50
	v_add_f32_e32 v47, v81, v47                                // 0000000113D0: 025E5F51
	v_add_f32_e32 v47, v82, v47                                // 0000000113D4: 025E5F52
	v_add_f32_e32 v47, v83, v47                                // 0000000113D8: 025E5F53
	v_add_f32_e32 v47, v84, v47                                // 0000000113DC: 025E5F54
	v_add_f32_e32 v47, v85, v47                                // 0000000113E0: 025E5F55
	v_add_f32_e32 v47, v86, v47                                // 0000000113E4: 025E5F56
	v_add_f32_e32 v47, v87, v47                                // 0000000113E8: 025E5F57
	v_add_f32_e32 v47, v88, v47                                // 0000000113EC: 025E5F58
	v_add_f32_e32 v47, v89, v47                                // 0000000113F0: 025E5F59
	v_add_f32_e32 v47, v90, v47                                // 0000000113F4: 025E5F5A
	v_add_f32_e32 v47, v91, v47                                // 0000000113F8: 025E5F5B
	v_add_f32_e32 v47, v92, v47                                // 0000000113FC: 025E5F5C
	v_add_f32_e32 v47, v93, v47                                // 000000011400: 025E5F5D
	v_add_f32_e32 v47, v94, v47                                // 000000011404: 025E5F5E
	v_add_f32_e32 v47, v95, v47                                // 000000011408: 025E5F5F
	s_nop 1                                                    // 00000001140C: BF800001
	v_rcp_f32_e32 v47, v47                                     // 000000011410: 7E5E452F
	s_nop 1                                                    // 000000011414: BF800001
	v_mul_f32_e32 v224, v47, v224                              // 000000011418: 0BC1C12F
	v_mul_f32_e32 v225, v47, v225                              // 00000001141C: 0BC3C32F
	v_mul_f32_e32 v226, v47, v226                              // 000000011420: 0BC5C52F
	v_mul_f32_e32 v227, v47, v227                              // 000000011424: 0BC7C72F
	v_mul_f32_e32 v228, v47, v228                              // 000000011428: 0BC9C92F
	v_mul_f32_e32 v229, v47, v229                              // 00000001142C: 0BCBCB2F
	v_mul_f32_e32 v230, v47, v230                              // 000000011430: 0BCDCD2F
	v_mul_f32_e32 v231, v47, v231                              // 000000011434: 0BCFCF2F
	v_cvt_pkrtz_f16_f32 v41, v224, v225                        // 000000011438: D2960029 0003C3E0
	v_mov_b32_e32 v224, v41                                    // 000000011440: 7FC00329
	v_cvt_pkrtz_f16_f32 v41, v226, v227                        // 000000011444: D2960029 0003C7E2
	v_mov_b32_e32 v225, v41                                    // 00000001144C: 7FC20329
	v_cvt_pkrtz_f16_f32 v41, v228, v229                        // 000000011450: D2960029 0003CBE4
	v_mov_b32_e32 v226, v41                                    // 000000011458: 7FC40329
	v_cvt_pkrtz_f16_f32 v41, v230, v231                        // 00000001145C: D2960029 0003CFE6
	v_mov_b32_e32 v227, v41                                    // 000000011464: 7FC60329
	s_nop 1                                                    // 000000011468: BF800001
	v_lshrrev_b32_e32 v41, 4, v0                               // 00000001146C: 20520084
	v_mul_i32_i24_e32 v45, 34, v41                             // 000000011470: 0C5A52A2
	v_and_b32_e32 v41, 15, v0                                  // 000000011474: 2652008F
	v_mul_i32_i24_e32 v42, 2, v41                              // 000000011478: 0C545282
	v_add_u32_e32 v45, v42, v45                                // 00000001147C: 685A5B2A
	s_mul_i32 s60, s7, 0x88                                    // 000000011480: 923CFF07 00000088
	v_add_u32_e32 v45, s60, v45                                // 000000011488: 685A5A3C
	v_lshlrev_b32_e32 v45, 2, v45                              // 00000001148C: 245A5A82
	ds_write_b64 v45, v[224:225] offset:41472                  // 000000011490: D89AA200 0000E02D
	ds_write_b64 v45, v[226:227] offset:43648                  // 000000011498: D89AAA80 0000E22D
	v_lshrrev_b32_e32 v41, 1, v0                               // 0000000114A0: 20520081
	v_mul_i32_i24_e32 v45, 34, v41                             // 0000000114A4: 0C5A52A2
	v_and_b32_e32 v42, 1, v0                                   // 0000000114A8: 26540081
	v_add_u32_e32 v45, v42, v45                                // 0000000114AC: 685A5B2A
	s_mul_i32 s60, s7, 2                                       // 0000000114B0: 923C8207
	v_add_u32_e32 v45, s60, v45                                // 0000000114B4: 685A5A3C
	v_lshlrev_b32_e32 v45, 2, v45                              // 0000000114B8: 245A5A82
	s_waitcnt lgkmcnt(0)                                       // 0000000114BC: BF8CC07F
	s_barrier                                                  // 0000000114C0: BF8A0000
	ds_read_b32 v224, v45 offset:41472                         // 0000000114C4: D86CA200 E000002D
	ds_read_b32 v225, v45 offset:41504                         // 0000000114CC: D86CA220 E100002D
	ds_read_b32 v226, v45 offset:41536                         // 0000000114D4: D86CA240 E200002D
	ds_read_b32 v227, v45 offset:41568                         // 0000000114DC: D86CA260 E300002D
	s_mul_i32 s60, s7, 0x100                                   // 0000000114E4: 923CFF07 00000100
	v_lshlrev_b32_e32 v41, 2, v0                               // 0000000114EC: 24520082
	v_add_u32_e64 v41, v41, s60                                // 0000000114F0: D1340029 00007929
	s_waitcnt lgkmcnt(0)                                       // 0000000114F8: BF8CC07F
	buffer_store_dword v224, v41, s[8:11], 0 offen             // 0000000114FC: E0701000 8002E029
	buffer_store_dword v225, v41, s[8:11], 0 offen offset:1024 // 000000011504: E0701400 8002E129
	s_add_u32 s8, s75, s8                                      // 00000001150C: 8008084B
	s_addc_u32 s9, 0, s9                                       // 000000011510: 82090980
	buffer_store_dword v226, v41, s[8:11], 0 offen             // 000000011514: E0701000 8002E229
	buffer_store_dword v227, v41, s[8:11], 0 offen offset:1024 // 00000001151C: E0701400 8002E329
	s_add_u32 s8, s75, s8                                      // 000000011524: 8008084B
	s_addc_u32 s9, 0, s9                                       // 000000011528: 82090980
	v_mul_f32_e32 v232, v64, v232                              // 00000001152C: 0BD1D140
	v_mul_f32_e32 v233, v64, v233                              // 000000011530: 0BD3D340
	v_mul_f32_e32 v234, v64, v234                              // 000000011534: 0BD5D540
	v_mul_f32_e32 v235, v64, v235                              // 000000011538: 0BD7D740
	v_mul_f32_e32 v236, v64, v236                              // 00000001153C: 0BD9D940
	v_mul_f32_e32 v237, v64, v237                              // 000000011540: 0BDBDB40
	v_mul_f32_e32 v238, v64, v238                              // 000000011544: 0BDDDD40
	v_mul_f32_e32 v239, v64, v239                              // 000000011548: 0BDFDF40
	v_mul_f32_e32 v200, v59, v200                              // 00000001154C: 0B91913B
	v_mul_f32_e32 v201, v59, v201                              // 000000011550: 0B93933B
	v_mul_f32_e32 v202, v59, v202                              // 000000011554: 0B95953B
	v_mul_f32_e32 v203, v59, v203                              // 000000011558: 0B97973B
	v_mul_f32_e32 v204, v59, v204                              // 00000001155C: 0B99993B
	v_mul_f32_e32 v205, v59, v205                              // 000000011560: 0B9B9B3B
	v_mul_f32_e32 v206, v59, v206                              // 000000011564: 0B9D9D3B
	v_mul_f32_e32 v207, v59, v207                              // 000000011568: 0B9F9F3B
	v_add_f32_e32 v232, v232, v200                             // 00000001156C: 03D191E8
	v_add_f32_e32 v233, v233, v201                             // 000000011570: 03D393E9
	v_add_f32_e32 v234, v234, v202                             // 000000011574: 03D595EA
	v_add_f32_e32 v235, v235, v203                             // 000000011578: 03D797EB
	v_add_f32_e32 v236, v236, v204                             // 00000001157C: 03D999EC
	v_add_f32_e32 v237, v237, v205                             // 000000011580: 03DB9BED
	v_add_f32_e32 v238, v238, v206                             // 000000011584: 03DD9DEE
	v_add_f32_e32 v239, v239, v207                             // 000000011588: 03DF9FEF
	ds_write_b32 v11, v48 offset:16896                         // 00000001158C: D81A4200 0000300B
	s_waitcnt lgkmcnt(0)                                       // 000000011594: BF8CC07F
	s_barrier                                                  // 000000011598: BF8A0000
	ds_read_b32 v80, v10 offset:16896                          // 00000001159C: D86C4200 5000000A
	ds_read_b32 v81, v10 offset:16960                          // 0000000115A4: D86C4240 5100000A
	ds_read_b32 v82, v10 offset:17024                          // 0000000115AC: D86C4280 5200000A
	ds_read_b32 v83, v10 offset:17088                          // 0000000115B4: D86C42C0 5300000A
	ds_read_b32 v84, v10 offset:17152                          // 0000000115BC: D86C4300 5400000A
	ds_read_b32 v85, v10 offset:17216                          // 0000000115C4: D86C4340 5500000A
	ds_read_b32 v86, v10 offset:17280                          // 0000000115CC: D86C4380 5600000A
	ds_read_b32 v87, v10 offset:17344                          // 0000000115D4: D86C43C0 5700000A
	ds_read_b32 v88, v10 offset:17408                          // 0000000115DC: D86C4400 5800000A
	ds_read_b32 v89, v10 offset:17472                          // 0000000115E4: D86C4440 5900000A
	ds_read_b32 v90, v10 offset:17536                          // 0000000115EC: D86C4480 5A00000A
	ds_read_b32 v91, v10 offset:17600                          // 0000000115F4: D86C44C0 5B00000A
	ds_read_b32 v92, v10 offset:17664                          // 0000000115FC: D86C4500 5C00000A
	ds_read_b32 v93, v10 offset:17728                          // 000000011604: D86C4540 5D00000A
	ds_read_b32 v94, v10 offset:17792                          // 00000001160C: D86C4580 5E00000A
	ds_read_b32 v95, v10 offset:17856                          // 000000011614: D86C45C0 5F00000A
	s_waitcnt lgkmcnt(0)                                       // 00000001161C: BF8CC07F
	v_mov_b32_e32 v48, 0                                       // 000000011620: 7E600280
	v_add_f32_e32 v48, v80, v48                                // 000000011624: 02606150
	v_add_f32_e32 v48, v81, v48                                // 000000011628: 02606151
	v_add_f32_e32 v48, v82, v48                                // 00000001162C: 02606152
	v_add_f32_e32 v48, v83, v48                                // 000000011630: 02606153
	v_add_f32_e32 v48, v84, v48                                // 000000011634: 02606154
	;; [unrolled: 1-line block ×3, first 2 shown]
	v_add_f32_e32 v48, v86, v48                                // 00000001163C: 02606156
	v_add_f32_e32 v48, v87, v48                                // 000000011640: 02606157
	v_add_f32_e32 v48, v88, v48                                // 000000011644: 02606158
	;; [unrolled: 1-line block ×3, first 2 shown]
	v_add_f32_e32 v48, v90, v48                                // 00000001164C: 0260615A
	v_add_f32_e32 v48, v91, v48                                // 000000011650: 0260615B
	v_add_f32_e32 v48, v92, v48                                // 000000011654: 0260615C
	v_add_f32_e32 v48, v93, v48                                // 000000011658: 0260615D
	v_add_f32_e32 v48, v94, v48                                // 00000001165C: 0260615E
	v_add_f32_e32 v48, v95, v48                                // 000000011660: 0260615F
	s_nop 1                                                    // 000000011664: BF800001
	v_rcp_f32_e32 v48, v48                                     // 000000011668: 7E604530
	s_nop 1                                                    // 00000001166C: BF800001
	v_mul_f32_e32 v232, v48, v232                              // 000000011670: 0BD1D130
	v_mul_f32_e32 v233, v48, v233                              // 000000011674: 0BD3D330
	v_mul_f32_e32 v234, v48, v234                              // 000000011678: 0BD5D530
	v_mul_f32_e32 v235, v48, v235                              // 00000001167C: 0BD7D730
	v_mul_f32_e32 v236, v48, v236                              // 000000011680: 0BD9D930
	v_mul_f32_e32 v237, v48, v237                              // 000000011684: 0BDBDB30
	v_mul_f32_e32 v238, v48, v238                              // 000000011688: 0BDDDD30
	v_mul_f32_e32 v239, v48, v239                              // 00000001168C: 0BDFDF30
	v_cvt_pkrtz_f16_f32 v41, v232, v233                        // 000000011690: D2960029 0003D3E8
	v_mov_b32_e32 v232, v41                                    // 000000011698: 7FD00329
	v_cvt_pkrtz_f16_f32 v41, v234, v235                        // 00000001169C: D2960029 0003D7EA
	v_mov_b32_e32 v233, v41                                    // 0000000116A4: 7FD20329
	v_cvt_pkrtz_f16_f32 v41, v236, v237                        // 0000000116A8: D2960029 0003DBEC
	v_mov_b32_e32 v234, v41                                    // 0000000116B0: 7FD40329
	v_cvt_pkrtz_f16_f32 v41, v238, v239                        // 0000000116B4: D2960029 0003DFEE
	v_mov_b32_e32 v235, v41                                    // 0000000116BC: 7FD60329
	s_nop 1                                                    // 0000000116C0: BF800001
	v_lshrrev_b32_e32 v41, 4, v0                               // 0000000116C4: 20520084
	v_mul_i32_i24_e32 v45, 34, v41                             // 0000000116C8: 0C5A52A2
	v_and_b32_e32 v41, 15, v0                                  // 0000000116CC: 2652008F
	v_mul_i32_i24_e32 v42, 2, v41                              // 0000000116D0: 0C545282
	v_add_u32_e32 v45, v42, v45                                // 0000000116D4: 685A5B2A
	s_mul_i32 s60, s7, 0x88                                    // 0000000116D8: 923CFF07 00000088
	v_add_u32_e32 v45, s60, v45                                // 0000000116E0: 685A5A3C
	v_lshlrev_b32_e32 v45, 2, v45                              // 0000000116E4: 245A5A82
	ds_write_b64 v45, v[232:233] offset:41472                  // 0000000116E8: D89AA200 0000E82D
	ds_write_b64 v45, v[234:235] offset:43648                  // 0000000116F0: D89AAA80 0000EA2D
	v_lshrrev_b32_e32 v41, 1, v0                               // 0000000116F8: 20520081
	v_mul_i32_i24_e32 v45, 34, v41                             // 0000000116FC: 0C5A52A2
	v_and_b32_e32 v42, 1, v0                                   // 000000011700: 26540081
	v_add_u32_e32 v45, v42, v45                                // 000000011704: 685A5B2A
	s_mul_i32 s60, s7, 2                                       // 000000011708: 923C8207
	v_add_u32_e32 v45, s60, v45                                // 00000001170C: 685A5A3C
	v_lshlrev_b32_e32 v45, 2, v45                              // 000000011710: 245A5A82
	s_waitcnt lgkmcnt(0)                                       // 000000011714: BF8CC07F
	s_barrier                                                  // 000000011718: BF8A0000
	ds_read_b32 v232, v45 offset:41472                         // 00000001171C: D86CA200 E800002D
	ds_read_b32 v233, v45 offset:41504                         // 000000011724: D86CA220 E900002D
	s_mul_i32 s60, s7, 0x100                                   // 00000001172C: 923CFF07 00000100
	v_lshlrev_b32_e32 v41, 2, v0                               // 000000011734: 24520082
	v_add_u32_e64 v41, v41, s60                                // 000000011738: D1340029 00007929
	s_waitcnt lgkmcnt(0)                                       // 000000011740: BF8CC07F
	buffer_store_dword v232, v41, s[8:11], 0 offen             // 000000011744: E0701000 8002E829
	buffer_store_dword v233, v41, s[8:11], 0 offen offset:1024 // 00000001174C: E0701400 8002E929
	s_add_u32 s8, s75, s8                                      // 000000011754: 8008084B
	s_addc_u32 s9, 0, s9                                       // 000000011758: 82090980
	s_branch label_3D58                                        // 00000001175C: BF820000

0000000000011760 <label_3D58>:
	s_waitcnt vmcnt(0) expcnt(0) lgkmcnt(0)                    // 000000011760: BF8C0000
	s_endpgm                                                   // 000000011764: BF810000
